;; amdgpu-corpus repo=ggml-org/llama.cpp kind=compiled arch=gfx1030 opt=O3
	.amdgcn_target "amdgcn-amd-amdhsa--gfx1030"
	.amdhsa_code_object_version 6
	.section	.text._ZL18flash_attn_ext_vecILi64ELi1EL9ggml_type7ELS0_8ELb0EEvPKcS2_S2_S2_S2_PKiPfP15HIP_vector_typeIfLj2EEffffjfiS6_IjLj3EEiiiiiiiiiiiliiliiiiil,"axG",@progbits,_ZL18flash_attn_ext_vecILi64ELi1EL9ggml_type7ELS0_8ELb0EEvPKcS2_S2_S2_S2_PKiPfP15HIP_vector_typeIfLj2EEffffjfiS6_IjLj3EEiiiiiiiiiiiliiliiiiil,comdat
	.globl	_ZL18flash_attn_ext_vecILi64ELi1EL9ggml_type7ELS0_8ELb0EEvPKcS2_S2_S2_S2_PKiPfP15HIP_vector_typeIfLj2EEffffjfiS6_IjLj3EEiiiiiiiiiiiliiliiiiil ; -- Begin function _ZL18flash_attn_ext_vecILi64ELi1EL9ggml_type7ELS0_8ELb0EEvPKcS2_S2_S2_S2_PKiPfP15HIP_vector_typeIfLj2EEffffjfiS6_IjLj3EEiiiiiiiiiiiliiliiiiil
	.p2align	8
	.type	_ZL18flash_attn_ext_vecILi64ELi1EL9ggml_type7ELS0_8ELb0EEvPKcS2_S2_S2_S2_PKiPfP15HIP_vector_typeIfLj2EEffffjfiS6_IjLj3EEiiiiiiiiiiiliiliiiiil,@function
_ZL18flash_attn_ext_vecILi64ELi1EL9ggml_type7ELS0_8ELb0EEvPKcS2_S2_S2_S2_PKiPfP15HIP_vector_typeIfLj2EEffffjfiS6_IjLj3EEiiiiiiiiiiiliiliiiiil: ; @_ZL18flash_attn_ext_vecILi64ELi1EL9ggml_type7ELS0_8ELb0EEvPKcS2_S2_S2_S2_PKiPfP15HIP_vector_typeIfLj2EEffffjfiS6_IjLj3EEiiiiiiiiiiiliiliiiiil
; %bb.0:
	s_clause 0x2
	s_load_dwordx2 s[28:29], s[4:5], 0x64
	s_load_dwordx2 s[34:35], s[4:5], 0x80
	;; [unrolled: 1-line block ×3, first 2 shown]
	v_mov_b32_e32 v16, 1.0
	s_waitcnt lgkmcnt(0)
	v_cvt_f32_u32_e32 v2, s29
	s_sub_i32 s1, 0, s29
	v_rcp_iflag_f32_e32 v2, v2
	v_mul_f32_e32 v2, 0x4f7ffffe, v2
	v_cvt_u32_f32_e32 v2, v2
	v_readfirstlane_b32 s0, v2
	s_mul_i32 s1, s1, s0
	s_mul_hi_u32 s1, s0, s1
	s_add_i32 s0, s0, s1
	s_mul_hi_u32 s0, s8, s0
	s_mul_i32 s1, s0, s29
	s_add_i32 s2, s0, 1
	s_sub_i32 s1, s8, s1
	s_sub_i32 s3, s1, s29
	s_cmp_ge_u32 s1, s29
	s_cselect_b32 s0, s2, s0
	s_cselect_b32 s1, s3, s1
	s_add_i32 s2, s0, 1
	s_cmp_ge_u32 s1, s29
	s_cselect_b32 s33, s2, s0
	s_abs_i32 s0, s35
	s_abs_i32 s9, s29
	v_cvt_f32_u32_e32 v2, s0
	s_sub_i32 s2, 0, s0
	s_xor_b32 s3, s29, s35
	s_ashr_i32 s3, s3, 31
	v_rcp_iflag_f32_e32 v2, v2
	v_mul_f32_e32 v2, 0x4f7ffffe, v2
	v_cvt_u32_f32_e32 v2, v2
	v_readfirstlane_b32 s1, v2
	s_mul_i32 s2, s2, s1
	s_mul_hi_u32 s2, s1, s2
	s_add_i32 s1, s1, s2
	s_mul_i32 s2, s33, s29
	s_mul_hi_u32 s1, s9, s1
	s_sub_i32 s30, s8, s2
	s_mul_i32 s10, s1, s0
	s_add_i32 s8, s1, 1
	s_sub_i32 s2, s9, s10
	s_sub_i32 s9, s2, s0
	s_cmp_ge_u32 s2, s0
	s_cselect_b32 s1, s8, s1
	s_cselect_b32 s2, s9, s2
	s_add_i32 s8, s1, 1
	s_cmp_ge_u32 s2, s0
	s_cselect_b32 s0, s8, s1
	s_abs_i32 s35, s36
	s_xor_b32 s0, s0, s3
	v_cvt_f32_u32_e32 v2, s35
	s_sub_i32 s41, s0, s3
	s_clause 0x1
	s_load_dwordx4 s[8:11], s[4:5], 0x40
	s_load_dword s0, s[4:5], 0x50
	s_abs_i32 s39, s41
	v_rcp_iflag_f32_e32 v2, v2
	v_cvt_f32_u32_e32 v3, s39
	s_sub_i32 s2, 0, s39
	s_abs_i32 s40, s30
	s_abs_i32 s38, s33
	v_rcp_iflag_f32_e32 v3, v3
	v_mul_f32_e32 v2, 0x4f7ffffe, v2
	v_cvt_u32_f32_e32 v2, v2
	v_mul_f32_e32 v3, 0x4f7ffffe, v3
	s_waitcnt lgkmcnt(0)
	v_cmp_le_f32_e64 s1, s9, 0
	v_readfirstlane_b32 s3, v2
	v_cvt_u32_f32_e32 v3, v3
	s_and_b32 vcc_lo, exec_lo, s1
	s_sub_i32 s1, 0, s35
	s_mul_i32 s1, s1, s3
	v_readfirstlane_b32 s9, v3
	s_mul_hi_u32 s1, s3, s1
	s_add_i32 s3, s3, s1
	s_mul_i32 s2, s2, s9
	s_mul_hi_u32 s2, s9, s2
	s_add_i32 s9, s9, s2
	s_cbranch_vccnz .LBB0_2
; %bb.1:
	v_sub_co_u32 v3, vcc_lo, s30, s0
	v_mov_b32_e32 v2, s10
	s_add_i32 s0, s30, 1
	v_lshlrev_b32_e32 v3, 1, v3
	v_cndmask_b32_e32 v2, s11, v2, vcc_lo
	v_or_b32_e32 v3, 1, v3
	v_cndmask_b32_e64 v3, v3, s0, vcc_lo
	v_cmp_neq_f32_e32 vcc_lo, 1.0, v2
	s_mov_b32 s0, 0x3e76c4e1
	v_cvt_f32_i32_e32 v3, v3
	v_cndmask_b32_e32 v4, 1.0, v3, vcc_lo
	v_cmp_neq_f32_e32 vcc_lo, 0, v4
	v_cndmask_b32_e32 v5, 1.0, v2, vcc_lo
	v_frexp_mant_f32_e64 v2, |v5|
	v_cmp_eq_f32_e64 s2, 0, v5
	v_cmp_gt_f32_e32 vcc_lo, 0x3f2aaaab, v2
	v_cndmask_b32_e64 v3, 1.0, 2.0, vcc_lo
	v_mul_f32_e32 v2, v2, v3
	v_add_f32_e32 v3, 1.0, v2
	v_add_f32_e32 v7, -1.0, v2
	v_rcp_f32_e32 v6, v3
	v_add_f32_e32 v9, -1.0, v3
	v_sub_f32_e32 v2, v2, v9
	v_mul_f32_e32 v8, v7, v6
	v_mul_f32_e32 v10, v3, v8
	v_fma_f32 v3, v8, v3, -v10
	v_fmac_f32_e32 v3, v8, v2
	v_add_f32_e32 v2, v10, v3
	v_sub_f32_e32 v9, v7, v2
	v_sub_f32_e32 v10, v2, v10
	;; [unrolled: 1-line block ×5, first 2 shown]
	v_add_f32_e32 v2, v3, v2
	v_add_f32_e32 v2, v9, v2
	v_mul_f32_e32 v2, v6, v2
	v_add_f32_e32 v6, v8, v2
	v_sub_f32_e32 v3, v6, v8
	v_mul_f32_e32 v7, v6, v6
	v_sub_f32_e32 v8, v2, v3
	v_fma_f32 v2, v6, v6, -v7
	v_add_f32_e32 v3, v8, v8
	v_fmac_f32_e32 v2, v6, v3
	v_add_f32_e32 v9, v7, v2
	v_fmaak_f32 v3, s0, v9, 0x3e91f4c4
	v_sub_f32_e32 v7, v9, v7
	v_mul_f32_e32 v14, v6, v9
	v_fmaak_f32 v3, v9, v3, 0x3ecccdef
	v_sub_f32_e32 v7, v2, v7
	v_fma_f32 v15, v9, v6, -v14
	v_mul_f32_e32 v10, v9, v3
	v_fmac_f32_e32 v15, v9, v8
	v_ldexp_f32 v8, v8, 1
	v_fma_f32 v11, v9, v3, -v10
	v_fmac_f32_e32 v15, v7, v6
	v_fmac_f32_e32 v11, v7, v3
	v_cvt_f64_f32_e64 v[2:3], |v5|
	v_add_f32_e32 v12, v10, v11
	v_sub_f32_e32 v10, v12, v10
	v_add_f32_e32 v13, 0x3f2aaaaa, v12
	v_sub_f32_e32 v10, v11, v10
	v_add_f32_e32 v11, 0xbf2aaaaa, v13
	v_add_f32_e32 v10, 0x31739010, v10
	v_sub_f32_e32 v11, v12, v11
	v_frexp_exp_i32_f64_e32 v2, v[2:3]
	v_add_f32_e32 v9, v10, v11
	v_add_f32_e32 v10, v14, v15
	;; [unrolled: 1-line block ×3, first 2 shown]
	v_sub_f32_e32 v12, v10, v14
	v_sub_f32_e32 v3, v13, v7
	v_mul_f32_e32 v11, v10, v7
	v_sub_f32_e32 v12, v15, v12
	v_add_f32_e32 v3, v9, v3
	v_fma_f32 v9, v10, v7, -v11
	v_subrev_co_ci_u32_e64 v2, null, 0, v2, vcc_lo
	v_fmac_f32_e32 v9, v10, v3
	v_ldexp_f32 v3, v6, 1
	v_cvt_f32_i32_e32 v2, v2
	v_fmac_f32_e32 v9, v12, v7
	v_add_f32_e32 v6, v11, v9
	v_add_f32_e32 v7, v3, v6
	v_sub_f32_e32 v10, v6, v11
	v_mul_f32_e32 v11, 0x3f317218, v2
	v_sub_f32_e32 v3, v7, v3
	v_sub_f32_e32 v9, v9, v10
	v_fma_f32 v10, 0x3f317218, v2, -v11
	v_sub_f32_e32 v3, v6, v3
	v_add_f32_e32 v6, v8, v9
	v_fmamk_f32 v2, v2, 0xb102e308, v10
	v_add_f32_e32 v3, v6, v3
	v_add_f32_e32 v6, v11, v2
	;; [unrolled: 1-line block ×3, first 2 shown]
	v_sub_f32_e32 v11, v6, v11
	v_add_f32_e32 v9, v6, v8
	v_sub_f32_e32 v7, v8, v7
	v_sub_f32_e32 v2, v2, v11
	v_sub_f32_e32 v10, v9, v6
	v_sub_f32_e32 v3, v3, v7
	v_sub_f32_e32 v12, v9, v10
	v_sub_f32_e32 v7, v8, v10
	v_add_f32_e32 v8, v2, v3
	v_sub_f32_e32 v6, v6, v12
	v_add_f32_e32 v6, v7, v6
	v_sub_f32_e32 v7, v8, v2
	;; [unrolled: 2-line block ×3, first 2 shown]
	v_sub_f32_e32 v3, v3, v7
	v_add_f32_e32 v10, v9, v6
	v_sub_f32_e32 v2, v2, v8
	v_sub_f32_e32 v7, v10, v9
	v_add_f32_e32 v2, v3, v2
	v_sub_f32_e32 v3, v6, v7
	v_add_f32_e32 v2, v2, v3
	v_add_f32_e32 v3, v10, v2
	v_sub_f32_e32 v6, v3, v10
	v_mul_f32_e32 v7, v4, v3
	v_sub_f32_e32 v2, v2, v6
	v_fma_f32 v3, v4, v3, -v7
	v_cmp_class_f32_e64 vcc_lo, v7, 0x204
	v_fmac_f32_e32 v3, v4, v2
	v_add_f32_e32 v2, v7, v3
	v_cndmask_b32_e32 v6, v2, v7, vcc_lo
	v_sub_f32_e32 v2, v2, v7
	v_cmp_eq_f32_e32 vcc_lo, 0x42b17218, v6
	v_sub_f32_e32 v2, v3, v2
	v_cndmask_b32_e64 v8, 0, 0x37000000, vcc_lo
	v_cmp_neq_f32_e64 vcc_lo, 0x7f800000, |v6|
	v_sub_f32_e32 v9, v6, v8
	v_cndmask_b32_e32 v2, 0, v2, vcc_lo
	v_trunc_f32_e32 v6, v4
	v_mul_f32_e32 v10, 0x3fb8aa3b, v9
	v_cmp_ngt_f32_e32 vcc_lo, 0xc2ce8ed0, v9
	v_add_f32_e32 v2, v8, v2
	v_fma_f32 v11, 0x3fb8aa3b, v9, -v10
	v_rndne_f32_e32 v12, v10
	v_fmamk_f32 v11, v9, 0x32a5705f, v11
	v_sub_f32_e32 v10, v10, v12
	v_cvt_i32_f32_e32 v7, v12
	v_add_f32_e32 v10, v10, v11
	v_exp_f32_e32 v10, v10
	v_ldexp_f32 v3, v10, v7
	v_mul_f32_e32 v7, 0.5, v4
	v_cndmask_b32_e32 v3, 0, v3, vcc_lo
	v_cmp_nlt_f32_e32 vcc_lo, 0x42b17218, v9
	v_trunc_f32_e32 v10, v7
	v_cndmask_b32_e32 v3, 0x7f800000, v3, vcc_lo
	v_cmp_eq_f32_e32 vcc_lo, v6, v4
	v_cmp_neq_f32_e64 s0, v10, v7
	v_fma_f32 v2, v3, v2, v3
	v_cmp_class_f32_e64 s1, v3, 0x204
	s_and_b32 s0, vcc_lo, s0
	v_cndmask_b32_e64 v6, 1.0, v5, s0
	v_cndmask_b32_e64 v2, v2, v3, s1
	v_cmp_gt_f32_e64 s1, 0, v4
	v_bfi_b32 v2, 0x7fffffff, v2, v6
	s_xor_b32 s1, s1, s2
	v_cndmask_b32_e64 v6, 0, v5, s0
	v_cndmask_b32_e64 v3, 0x7f800000, 0, s1
	v_cmp_class_f32_e64 s0, v5, 0x204
	v_cndmask_b32_e32 v4, 0x7fc00000, v2, vcc_lo
	v_cmp_gt_f32_e32 vcc_lo, 0, v5
	v_bfi_b32 v3, 0x7fffffff, v3, v6
	v_cndmask_b32_e32 v2, v2, v4, vcc_lo
	s_or_b32 vcc_lo, s2, s0
	v_cndmask_b32_e32 v2, v2, v3, vcc_lo
	v_cmp_o_f32_e32 vcc_lo, v5, v5
	v_cndmask_b32_e32 v16, 0x7fc00000, v2, vcc_lo
.LBB0_2:
	s_load_dwordx16 s[12:27], s[4:5], 0x0
	v_cmp_eq_u32_e64 s0, 0, v1
	s_mul_hi_u32 s42, s40, s9
	s_mul_hi_u32 s36, s38, s3
	s_and_saveexec_b32 s9, s0
	s_cbranch_execz .LBB0_15
; %bb.3:
	s_load_dwordx4 s[44:47], s[4:5], 0x70
	v_lshlrev_b32_e32 v2, 4, v0
	v_cmp_gt_u32_e32 vcc_lo, 16, v0
	v_mov_b32_e32 v4, 0
	v_mov_b32_e32 v5, 0
	s_waitcnt lgkmcnt(0)
	s_mul_i32 s1, s33, s46
	s_mul_i32 s2, s44, s6
	;; [unrolled: 1-line block ×3, first 2 shown]
	s_add_i32 s1, s1, s2
	s_add_i32 s1, s1, s3
	s_ashr_i32 s2, s1, 31
	s_add_u32 s1, s12, s1
	s_addc_u32 s2, s13, s2
	v_add_co_u32 v2, s1, s1, v2
	v_add_co_ci_u32_e64 v3, null, s2, 0, s1
	s_and_saveexec_b32 s1, vcc_lo
	s_cbranch_execz .LBB0_5
; %bb.4:
	global_load_dword v5, v[2:3], off
	s_waitcnt vmcnt(0)
	v_mul_f32_e32 v5, s8, v5
.LBB0_5:
	s_or_b32 exec_lo, exec_lo, s1
	s_and_saveexec_b32 s1, vcc_lo
	s_cbranch_execz .LBB0_7
; %bb.6:
	global_load_dword v4, v[2:3], off offset:4
	s_waitcnt vmcnt(0)
	v_mul_f32_e32 v4, s8, v4
.LBB0_7:
	s_or_b32 exec_lo, exec_lo, s1
	v_mov_b32_e32 v6, 0
	v_mov_b32_e32 v7, 0
	s_and_saveexec_b32 s1, vcc_lo
	s_cbranch_execz .LBB0_9
; %bb.8:
	global_load_dword v7, v[2:3], off offset:8
	s_waitcnt vmcnt(0)
	v_mul_f32_e32 v7, s8, v7
.LBB0_9:
	s_or_b32 exec_lo, exec_lo, s1
	s_and_saveexec_b32 s1, vcc_lo
	s_cbranch_execz .LBB0_11
; %bb.10:
	global_load_dword v2, v[2:3], off offset:12
	s_waitcnt vmcnt(0)
	v_mul_f32_e32 v6, s8, v2
.LBB0_11:
	s_or_b32 exec_lo, exec_lo, s1
	v_mbcnt_lo_u32_b32 v2, -1, 0
	v_max_f32_e64 v3, |v4|, |v4|
	v_max_f32_e64 v8, |v5|, |v5|
	s_mov_b32 s8, exec_lo
	v_xor_b32_e32 v9, 4, v2
	v_xor_b32_e32 v10, 2, v2
	v_max_f32_e32 v3, v8, v3
	v_xor_b32_e32 v11, 1, v2
	v_cmp_gt_i32_e32 vcc_lo, 32, v9
	v_max3_f32 v3, v3, |v7|, |v6|
	v_cndmask_b32_e32 v8, v2, v9, vcc_lo
	v_cmp_gt_i32_e32 vcc_lo, 32, v10
	v_lshlrev_b32_e32 v8, 2, v8
	v_cndmask_b32_e32 v10, v2, v10, vcc_lo
	v_cmp_gt_i32_e32 vcc_lo, 32, v11
	ds_bpermute_b32 v9, v8, v3
	v_lshlrev_b32_e32 v10, 2, v10
	v_cndmask_b32_e32 v2, v2, v11, vcc_lo
	v_add_f32_e32 v11, v5, v4
	v_lshlrev_b32_e32 v2, 2, v2
	v_add_f32_e32 v11, v11, v7
	v_add_f32_e32 v11, v11, v6
	ds_bpermute_b32 v8, v8, v11
	s_waitcnt lgkmcnt(1)
	v_max_f32_e32 v9, v9, v9
	v_max_f32_e32 v3, v3, v9
	ds_bpermute_b32 v9, v10, v3
	s_waitcnt lgkmcnt(0)
	v_max_f32_e32 v9, v9, v9
	v_max_f32_e32 v3, v3, v9
	;; [unrolled: 4-line block ×3, first 2 shown]
	v_add_f32_e32 v3, v11, v8
	v_div_scale_f32 v12, null, 0x42fe0000, 0x42fe0000, v9
	ds_bpermute_b32 v10, v10, v3
	v_div_scale_f32 v11, vcc_lo, v9, 0x42fe0000, v9
	v_rcp_f32_e32 v13, v12
	v_fma_f32 v8, -v12, v13, 1.0
	v_fmac_f32_e32 v13, v8, v13
	s_waitcnt lgkmcnt(0)
	v_add_f32_e32 v3, v3, v10
	v_mul_f32_e32 v14, v11, v13
	v_fma_f32 v8, -v12, v14, v11
	v_fmac_f32_e32 v14, v8, v13
	ds_bpermute_b32 v8, v2, v3
	v_fma_f32 v2, -v12, v14, v11
	v_div_fmas_f32 v2, v2, v13, v14
	v_div_fixup_f32 v2, v2, 0x42fe0000, v9
	v_mov_b32_e32 v9, 0
	v_cmpx_neq_f32_e32 0, v2
	s_cbranch_execz .LBB0_13
; %bb.12:
	v_div_scale_f32 v9, null, v2, v2, v5
	v_div_scale_f32 v10, null, v2, v2, v4
	;; [unrolled: 1-line block ×3, first 2 shown]
	v_rcp_f32_e32 v11, v9
	v_div_scale_f32 v13, null, v2, v2, v6
	v_rcp_f32_e32 v14, v10
	v_rcp_f32_e32 v15, v12
	v_div_scale_f32 v20, vcc_lo, v5, v2, v5
	v_rcp_f32_e32 v17, v13
	v_fma_f32 v18, -v9, v11, 1.0
	v_fma_f32 v19, -v10, v14, 1.0
	;; [unrolled: 1-line block ×3, first 2 shown]
	v_fmac_f32_e32 v11, v18, v11
	v_div_scale_f32 v18, s1, v4, v2, v4
	v_fma_f32 v22, -v13, v17, 1.0
	v_fmac_f32_e32 v14, v19, v14
	v_fmac_f32_e32 v15, v21, v15
	v_div_scale_f32 v19, s2, v7, v2, v7
	v_fmac_f32_e32 v17, v22, v17
	v_mul_f32_e32 v22, v20, v11
	v_mul_f32_e32 v23, v18, v14
	;; [unrolled: 1-line block ×3, first 2 shown]
	v_div_scale_f32 v21, s3, v6, v2, v6
	v_fma_f32 v26, -v9, v22, v20
	v_fma_f32 v27, -v10, v23, v18
	;; [unrolled: 1-line block ×3, first 2 shown]
	v_mul_f32_e32 v25, v21, v17
	v_fmac_f32_e32 v22, v26, v11
	v_fmac_f32_e32 v23, v27, v14
	;; [unrolled: 1-line block ×3, first 2 shown]
	v_fma_f32 v29, -v13, v25, v21
	v_fma_f32 v9, -v9, v22, v20
	;; [unrolled: 1-line block ×4, first 2 shown]
	v_fmac_f32_e32 v25, v29, v17
	v_div_fmas_f32 v9, v9, v11, v22
	s_mov_b32 vcc_lo, s1
	v_div_fmas_f32 v10, v10, v14, v23
	s_mov_b32 vcc_lo, s2
	v_div_fixup_f32 v5, v9, v2, v5
	v_div_fmas_f32 v11, v12, v15, v24
	v_fma_f32 v12, -v13, v25, v21
	s_mov_b32 vcc_lo, s3
	v_div_fixup_f32 v4, v10, v2, v4
	v_div_fixup_f32 v7, v11, v2, v7
	v_div_fmas_f32 v11, v12, v17, v25
	v_trunc_f32_e32 v10, v4
	v_trunc_f32_e32 v12, v7
	v_div_fixup_f32 v6, v11, v2, v6
	v_trunc_f32_e32 v11, v5
	v_sub_f32_e32 v14, v4, v10
	v_sub_f32_e32 v9, v7, v12
	v_trunc_f32_e32 v13, v6
	v_sub_f32_e32 v17, v5, v11
	v_cmp_ge_f32_e64 s1, |v9|, 0.5
	v_sub_f32_e32 v15, v6, v13
	v_cndmask_b32_e64 v9, 0, 1.0, s1
	v_cmp_ge_f32_e64 s1, |v14|, 0.5
	v_bfi_b32 v7, 0x7fffffff, v9, v7
	v_cndmask_b32_e64 v9, 0, 1.0, s1
	v_cmp_ge_f32_e64 s1, |v15|, 0.5
	v_add_f32_e32 v7, v12, v7
	v_bfi_b32 v4, 0x7fffffff, v9, v4
	v_cndmask_b32_e64 v14, 0, 1.0, s1
	v_cmp_ge_f32_e64 s1, |v17|, 0.5
	v_mov_b32_e32 v9, 8
	v_cvt_i32_f32_e32 v7, v7
	v_add_f32_e32 v4, v10, v4
	v_bfi_b32 v6, 0x7fffffff, v14, v6
	v_cndmask_b32_e64 v12, 0, 1.0, s1
	v_and_b32_e32 v7, 0xff, v7
	v_cvt_i32_f32_e32 v4, v4
	v_add_f32_e32 v6, v13, v6
	v_bfi_b32 v5, 0x7fffffff, v12, v5
	v_lshlrev_b32_e32 v7, 16, v7
	v_lshlrev_b32_sdwa v4, v9, v4 dst_sel:DWORD dst_unused:UNUSED_PAD src0_sel:DWORD src1_sel:BYTE_0
	v_cvt_i32_f32_e32 v6, v6
	v_add_f32_e32 v5, v11, v5
	v_lshl_or_b32 v6, v6, 24, v7
	v_cvt_i32_f32_e32 v5, v5
	v_and_b32_e32 v5, 0xff, v5
	v_or3_b32 v9, v6, v4, v5
.LBB0_13:
	s_or_b32 exec_lo, exec_lo, s8
	v_and_b32_e32 v4, 0x77, v0
	v_lshlrev_b32_e32 v5, 2, v0
	v_cmp_eq_u32_e32 vcc_lo, 0, v4
	ds_write_b32 v5, v9
	s_and_b32 exec_lo, exec_lo, vcc_lo
	s_cbranch_execz .LBB0_15
; %bb.14:
	s_waitcnt lgkmcnt(1)
	v_add_f32_e32 v3, v3, v8
	ds_write_b64 v0, v[2:3] offset:64
.LBB0_15:
	s_or_b32 exec_lo, exec_lo, s9
	v_and_b32_e32 v14, 1, v0
	v_mov_b32_e32 v22, 0
	s_waitcnt lgkmcnt(0)
	s_barrier
	buffer_gl0_inv
	v_lshlrev_b32_e32 v21, 2, v14
	s_ashr_i32 s31, s30, 31
	s_ashr_i32 s1, s41, 31
	;; [unrolled: 1-line block ×3, first 2 shown]
	s_cmp_eq_u64 s[22:23], 0
	ds_read2_b32 v[6:7], v21 offset1:2
	ds_read2_b32 v[8:9], v21 offset0:4 offset1:6
	ds_read2_b32 v[10:11], v21 offset0:8 offset1:10
	;; [unrolled: 1-line block ×3, first 2 shown]
	ds_read_b128 v[2:5], v22 offset:64
	s_waitcnt lgkmcnt(0)
	s_barrier
	buffer_gl0_inv
	s_cbranch_scc1 .LBB0_17
; %bb.16:
	s_load_dword s2, s[4:5], 0xd0
	s_mov_b32 s3, 0
	s_waitcnt lgkmcnt(0)
	s_mul_i32 s2, s2, s33
	s_add_i32 s2, s2, s6
	s_lshl_b64 s[2:3], s[2:3], 2
	s_add_u32 s2, s22, s2
	s_addc_u32 s3, s23, s3
	s_load_dword s34, s[2:3], 0x0
.LBB0_17:
	v_lshlrev_b32_e32 v15, 5, v1
	v_mbcnt_lo_u32_b32 v20, -1, 0
	v_lshlrev_b32_e32 v19, 2, v0
	s_lshl_b32 s22, s7, 7
	s_mov_b32 s23, 0
	v_add_nc_u32_e32 v17, v15, v0
	s_waitcnt lgkmcnt(0)
	s_cmp_ge_i32 s22, s34
	v_lshlrev_b32_e32 v18, 1, v17
	s_cbranch_scc1 .LBB0_25
; %bb.18:
	s_clause 0x1
	s_load_dwordx4 s[8:11], s[4:5], 0x98
	s_load_dwordx2 s[2:3], s[4:5], 0x8c
	s_xor_b32 s41, s31, s1
	s_mul_i32 s1, s42, s39
	s_add_i32 s44, s42, 1
	s_sub_i32 s40, s40, s1
	s_mul_i32 s45, s36, s35
	s_mul_i32 s46, s37, s6
	s_clause 0x2
	s_load_dwordx2 s[12:13], s[4:5], 0xa8
	s_load_dwordx2 s[36:37], s[4:5], 0xc8
	s_load_dword s47, s[4:5], 0xd4
	v_and_b32_e32 v22, 0x7e, v0
	v_lshrrev_b32_e32 v23, 4, v0
	v_bfe_u32 v25, v0, 3, 1
	v_and_b32_e32 v27, 28, v19
	v_add_nc_u32_e32 v24, v15, v22
	v_or_b32_e32 v22, v15, v23
	v_add_nc_u32_e32 v29, v15, v23
	v_mul_hi_u32_u24_e32 v15, 34, v25
	v_lshlrev_b32_e32 v23, 1, v24
	s_waitcnt lgkmcnt(0)
	s_mul_hi_u32 s1, s8, s33
	s_mul_i32 s48, s8, s43
	s_mul_i32 s9, s9, s33
	s_add_i32 s1, s1, s48
	s_sub_i32 s48, s40, s39
	s_add_i32 s9, s1, s9
	s_cmp_ge_u32 s40, s39
	v_cmp_eq_u32_e64 s1, 0, v14
	s_cselect_b32 s42, s44, s42
	s_cselect_b32 s40, s48, s40
	s_add_i32 s44, s42, 1
	s_cmp_ge_u32 s40, s39
	v_mul_u32_u24_e32 v14, 34, v25
	s_cselect_b32 s39, s44, s42
	s_sub_i32 s38, s38, s45
	s_xor_b32 s39, s39, s41
	v_mul_lo_u32 v28, s10, v29
	s_sub_i32 s40, s39, s41
	s_sub_i32 s41, s38, s35
	s_mul_i32 s39, s40, s3
	s_mul_i32 s3, s40, s11
	s_ashr_i32 s40, s39, 31
	s_ashr_i32 s11, s3, 31
	s_cmp_ge_u32 s38, s35
	v_mad_u64_u32 v[25:26], null, s12, s33, v[14:15]
	s_cselect_b32 s38, s41, s38
	s_mul_i32 s12, s12, s43
	s_sub_i32 s41, s38, s35
	s_cmp_ge_u32 s38, s35
	v_ashrrev_i32_e32 v31, 31, v28
	s_cselect_b32 s35, s41, s38
	s_mul_i32 s38, s13, s33
	s_xor_b32 s35, s35, s43
	s_ashr_i32 s42, s46, 31
	s_sub_i32 s35, s35, s43
	v_add3_u32 v26, s12, s38, v26
	s_ashr_i32 s13, s35, 31
	s_mul_hi_u32 s41, s36, s35
	s_mul_i32 s13, s36, s13
	s_mul_i32 s37, s37, s35
	s_add_i32 s13, s41, s13
	s_mul_i32 s48, s36, s35
	s_add_i32 s37, s13, s37
	s_cmp_lg_u64 s[18:19], 0
	v_add_nc_u32_e32 v32, 30, v29
	s_cselect_b32 s35, -1, 0
	s_lshl_b32 s36, s47, 7
	s_add_u32 s13, s14, s39
	s_addc_u32 s41, s15, s40
	s_lshl_b64 s[44:45], s[22:23], 1
	v_add_nc_u32_e32 v37, 28, v29
	s_add_u32 s43, s48, s44
	s_addc_u32 s37, s37, s45
	s_add_u32 s18, s18, s46
	s_addc_u32 s19, s19, s42
	;; [unrolled: 2-line block ×3, first 2 shown]
	v_add_co_u32 v14, s12, s18, v23
	v_add_co_ci_u32_e64 v15, null, s19, 0, s12
	v_add_co_u32 v23, vcc_lo, v25, s3
	v_add_co_ci_u32_e64 v30, null, s11, v26, vcc_lo
	v_add_co_u32 v14, vcc_lo, v14, 2
	v_add_co_ci_u32_e64 v15, null, 0, v15, vcc_lo
	;; [unrolled: 2-line block ×4, first 2 shown]
	v_mul_lo_u32 v32, s10, v32
	v_add_co_u32 v33, vcc_lo, v27, s3
	v_add_co_ci_u32_e64 v36, null, s11, v30, vcc_lo
	v_add_nc_u32_e32 v38, 26, v29
	v_add_nc_u32_e32 v39, 24, v29
	v_add_co_u32 v40, vcc_lo, v33, v28
	v_mul_lo_u32 v28, s10, v37
	v_add_co_ci_u32_e64 v41, null, v36, v31, vcc_lo
	v_mul_lo_u32 v33, s10, v38
	v_mul_lo_u32 v36, s10, v39
	v_ashrrev_i32_e32 v39, 31, v32
	v_add_nc_u32_e32 v31, 22, v29
	v_add_co_u32 v63, vcc_lo, v27, v32
	v_ashrrev_i32_e32 v42, 31, v28
	v_add_co_ci_u32_e64 v64, null, v30, v39, vcc_lo
	v_add_co_u32 v65, vcc_lo, v25, v32
	v_add_nc_u32_e32 v37, 20, v29
	v_add_co_ci_u32_e64 v66, null, v26, v39, vcc_lo
	v_add_co_u32 v67, vcc_lo, v27, v28
	v_mul_lo_u32 v31, s10, v31
	v_ashrrev_i32_e32 v43, 31, v33
	v_add_co_ci_u32_e64 v68, null, v30, v42, vcc_lo
	v_add_co_u32 v69, vcc_lo, v25, v28
	v_add_nc_u32_e32 v44, 18, v29
	v_add_co_ci_u32_e64 v70, null, v26, v42, vcc_lo
	v_add_co_u32 v71, vcc_lo, v27, v33
	v_mul_lo_u32 v37, s10, v37
	v_ashrrev_i32_e32 v45, 31, v36
	v_add_co_ci_u32_e64 v72, null, v30, v43, vcc_lo
	v_add_co_u32 v73, vcc_lo, v25, v33
	v_add_nc_u32_e32 v46, 16, v29
	v_add_co_ci_u32_e64 v74, null, v26, v43, vcc_lo
	v_add_co_u32 v75, vcc_lo, v27, v36
	v_ashrrev_i32_e32 v47, 31, v31
	v_mul_lo_u32 v44, s10, v44
	v_add_co_ci_u32_e64 v76, null, v30, v45, vcc_lo
	v_add_co_u32 v77, vcc_lo, v25, v36
	v_add_nc_u32_e32 v48, 14, v29
	v_add_co_ci_u32_e64 v78, null, v26, v45, vcc_lo
	v_add_co_u32 v79, vcc_lo, v27, v31
	v_ashrrev_i32_e32 v49, 31, v37
	v_mul_lo_u32 v46, s10, v46
	v_add_co_ci_u32_e64 v80, null, v30, v47, vcc_lo
	v_add_co_u32 v81, vcc_lo, v25, v31
	v_add_nc_u32_e32 v50, 12, v29
	v_add_co_ci_u32_e64 v82, null, v26, v47, vcc_lo
	v_add_co_u32 v83, vcc_lo, v27, v37
	v_mul_lo_u32 v48, s10, v48
	v_ashrrev_i32_e32 v55, 31, v44
	v_add_co_ci_u32_e64 v84, null, v30, v49, vcc_lo
	v_add_co_u32 v85, vcc_lo, v25, v37
	v_add_nc_u32_e32 v51, 10, v29
	v_add_co_ci_u32_e64 v86, null, v26, v49, vcc_lo
	v_add_co_u32 v87, vcc_lo, v27, v44
	v_mul_lo_u32 v50, s10, v50
	v_ashrrev_i32_e32 v56, 31, v46
	;; [unrolled: 7-line block ×5, first 2 shown]
	v_add_nc_u32_e32 v54, 4, v29
	v_add_co_ci_u32_e64 v100, null, v30, v58, vcc_lo
	v_add_co_u32 v101, vcc_lo, v25, v50
	v_add_co_ci_u32_e64 v102, null, v26, v58, vcc_lo
	v_add_co_u32 v103, vcc_lo, v27, v51
	v_mul_lo_u32 v23, s10, v23
	v_ashrrev_i32_e32 v60, 31, v52
	v_add_co_ci_u32_e64 v104, null, v30, v59, vcc_lo
	v_add_co_u32 v105, vcc_lo, v25, v51
	v_mul_lo_u32 v54, s10, v54
	v_add_co_ci_u32_e64 v106, null, v26, v59, vcc_lo
	v_add_co_u32 v107, vcc_lo, v27, v52
	v_ashrrev_i32_e32 v61, 31, v53
	v_add_co_ci_u32_e64 v108, null, v30, v60, vcc_lo
	v_add_co_u32 v109, vcc_lo, v25, v52
	v_add_co_ci_u32_e64 v110, null, v26, v60, vcc_lo
	v_add_co_u32 v111, vcc_lo, v27, v53
	v_ashrrev_i32_e32 v38, 31, v23
	v_add_co_ci_u32_e64 v112, null, v30, v61, vcc_lo
	v_add_co_u32 v113, vcc_lo, v25, v53
	v_ashrrev_i32_e32 v62, 31, v54
	v_and_b32_e32 v28, 30, v20
	v_add_co_ci_u32_e64 v114, null, v26, v61, vcc_lo
	v_add_co_u32 v42, vcc_lo, v25, v23
	v_add_co_ci_u32_e64 v43, null, v26, v38, vcc_lo
	v_add_co_u32 v115, vcc_lo, v25, v54
	v_add_co_ci_u32_e64 v116, null, v26, v62, vcc_lo
	v_add_nc_u32_e32 v25, 2, v28
	v_xor_b32_e32 v26, 1, v20
	v_add_co_u32 v117, vcc_lo, v27, v54
	v_add_co_ci_u32_e64 v118, null, v30, v62, vcc_lo
	v_cmp_lt_i32_e32 vcc_lo, v26, v25
	s_mul_i32 s8, s8, s33
	s_mov_b32 s37, s23
	v_add_co_u32 v36, s12, s8, v21
	v_cndmask_b32_e32 v25, v20, v26, vcc_lo
	v_xor_b32_e32 v26, 2, v20
	v_add_co_u32 v119, vcc_lo, v27, v23
	v_add_co_ci_u32_e64 v120, null, v30, v38, vcc_lo
	v_mul_lo_u32 v38, v24, s2
	v_xor_b32_e32 v24, 4, v20
	v_cmp_gt_i32_e32 vcc_lo, 32, v26
	v_lshlrev_b32_e32 v23, 2, v25
	v_xor_b32_e32 v25, 8, v20
	v_xor_b32_e32 v27, 16, v20
	v_add_co_ci_u32_e64 v37, null, s9, 0, s12
	v_cndmask_b32_e32 v26, v20, v26, vcc_lo
	v_cmp_gt_i32_e32 vcc_lo, 32, v24
	v_add_nc_u32_e32 v32, s2, v38
	s_lshl_b64 s[18:19], s[36:37], 1
	s_add_u32 s12, s13, s8
	v_ashrrev_i32_e32 v39, 31, v38
	v_cndmask_b32_e32 v28, v20, v24, vcc_lo
	v_cmp_gt_i32_e32 vcc_lo, 32, v25
	v_ashrrev_i32_e32 v33, 31, v32
	v_lshlrev_b32_e32 v24, 2, v26
	v_lshlrev_b32_e32 v29, 1, v29
	s_mul_i32 s38, s10, s22
	v_cndmask_b32_e32 v30, v20, v25, vcc_lo
	v_cmp_gt_i32_e32 vcc_lo, 32, v27
	v_lshlrev_b32_e32 v25, 2, v28
	v_lshlrev_b32_e32 v28, 1, v22
	s_mul_i32 s23, s2, s22
	v_lshlrev_b32_e32 v26, 2, v30
	v_cndmask_b32_e32 v27, v20, v27, vcc_lo
	v_add_co_u32 v22, vcc_lo, v36, v32
	v_add_co_ci_u32_e64 v31, null, v37, v33, vcc_lo
	v_lshlrev_b32_e32 v27, 2, v27
	v_add_co_u32 v30, vcc_lo, s13, v22
	v_add_co_ci_u32_e64 v31, null, s41, v31, vcc_lo
	v_add_co_u32 v22, vcc_lo, v36, s39
	v_add_co_ci_u32_e64 v36, null, s40, v37, vcc_lo
	s_addc_u32 s13, s41, s9
	v_add_co_u32 v32, vcc_lo, s12, v32
	v_add_co_ci_u32_e64 v33, null, s13, v33, vcc_lo
	v_add_co_u32 v22, vcc_lo, v22, v38
	v_add_co_ci_u32_e64 v37, null, v36, v39, vcc_lo
	v_add_co_u32 v34, vcc_lo, s16, v34
	s_add_u32 s8, s8, s39
	s_addc_u32 s9, s9, s40
	v_add_co_ci_u32_e64 v35, null, s17, v35, vcc_lo
	v_add_co_u32 v36, vcc_lo, s14, v22
	s_add_u32 s8, s14, s8
	v_add_co_ci_u32_e64 v37, null, s15, v37, vcc_lo
	s_addc_u32 s9, s15, s9
	v_add_co_u32 v22, vcc_lo, s8, v38
	v_add_co_ci_u32_e64 v44, null, s9, v39, vcc_lo
	v_add_co_u32 v38, vcc_lo, s16, v40
	v_add_co_ci_u32_e64 v39, null, s17, v41, vcc_lo
	v_add_co_u32 v40, vcc_lo, v22, 28
	s_add_u32 s3, s16, s3
	v_add_co_ci_u32_e64 v41, null, 0, v44, vcc_lo
	s_addc_u32 s8, s17, s11
	v_add_co_u32 v42, vcc_lo, s3, v42
	v_add_co_ci_u32_e64 v43, null, s8, v43, vcc_lo
	v_add_co_u32 v44, vcc_lo, s3, v63
	v_add_co_ci_u32_e64 v45, null, s8, v64, vcc_lo
	;; [unrolled: 2-line block ×30, first 2 shown]
	v_mov_b32_e32 v22, 0
	v_or_b32_e32 v102, 8, v21
	v_or_b32_e32 v103, 16, v21
	;; [unrolled: 1-line block ×3, first 2 shown]
	v_mov_b32_e32 v108, 0xfeffffff
	v_mov_b32_e32 v106, 0
	v_mov_b32_e32 v105, 0x10001
	v_mov_b32_e32 v107, 0
	s_mul_i32 s37, s36, s2
	s_mul_i32 s39, s36, s10
.LBB0_19:                               ; =>This Inner Loop Header: Depth=1
	v_add_co_u32 v109, vcc_lo, v40, s23
	v_add_co_ci_u32_e64 v110, null, 0, v41, vcc_lo
	v_add_co_u32 v111, vcc_lo, v36, s23
	v_add_co_ci_u32_e64 v112, null, 0, v37, vcc_lo
	s_clause 0x1
	global_load_dwordx2 v[113:114], v[109:110], off offset:-28
	global_load_dwordx2 v[109:110], v[109:110], off offset:-4
	s_and_b32 vcc_lo, exec_lo, s35
	global_load_dword v115, v[111:112], off offset:8
	s_waitcnt vmcnt(2)
	v_ashrrev_i32_e32 v117, v21, v114
	s_waitcnt vmcnt(0)
	v_and_b32_e32 v116, 0xf0f0f0f, v115
	v_lshrrev_b32_e32 v115, 4, v115
	v_lshlrev_b32_e32 v118, 4, v117
	v_lshlrev_b32_e32 v119, 11, v117
	;; [unrolled: 1-line block ×4, first 2 shown]
	v_and_b32_e32 v115, 0xf0f0f0f, v115
	v_and_b32_e32 v118, 16, v118
	;; [unrolled: 1-line block ×5, first 2 shown]
	v_or3_b32 v116, v117, v116, v120
	v_ashrrev_i32_e32 v120, v102, v114
	v_mov_b32_e32 v117, 0
	v_or3_b32 v116, v116, v118, v119
	global_load_dword v118, v[111:112], off offset:16
	v_lshlrev_b32_e32 v121, 4, v120
	v_lshlrev_b32_e32 v122, 11, v120
	;; [unrolled: 1-line block ×4, first 2 shown]
	v_dot4c_i32_i8 v117, v116, v6
	v_and_b32_e32 v121, 16, v121
	v_cvt_f32_f16_e32 v116, v113
	v_and_b32_e32 v123, 0x100000, v123
	v_and_b32_e32 v120, 0x10000000, v120
	v_cvt_f32_f16_sdwa v113, v113 dst_sel:DWORD dst_unused:UNUSED_PAD src0_sel:WORD_1
	v_and_b32_e32 v122, 0x1000, v122
	v_mul_f32_e32 v116, v2, v116
	v_cvt_f32_i32_e32 v117, v117
	v_or3_b32 v120, v123, v120, v121
	v_mul_f32_e32 v113, v3, v113
	v_mul_f32_e32 v113, 0x3e000000, v113
	v_fma_f32 v117, v116, v117, v113
	v_add_f32_e32 v117, 0, v117
	s_waitcnt vmcnt(0)
	v_and_b32_e32 v119, 0xf0f0f0f, v118
	v_or3_b32 v119, v120, v122, v119
	v_mov_b32_e32 v120, 0
	v_dot4c_i32_i8 v120, v119, v7
	v_cvt_f32_i32_e32 v119, v120
	v_fma_f32 v119, v116, v119, v113
	v_add_f32_e32 v117, v117, v119
	v_ashrrev_i32_e32 v119, v103, v114
	v_ashrrev_i32_e32 v114, v104, v114
	v_lshlrev_b32_e32 v120, 4, v119
	v_lshlrev_b32_e32 v121, 11, v119
	;; [unrolled: 1-line block ×4, first 2 shown]
	v_and_b32_e32 v120, 16, v120
	v_and_b32_e32 v121, 0x1000, v121
	;; [unrolled: 1-line block ×4, first 2 shown]
	v_or3_b32 v115, v119, v115, v122
	v_mov_b32_e32 v119, 0
	v_or3_b32 v115, v115, v120, v121
	v_lshlrev_b32_e32 v120, 18, v114
	v_dot4c_i32_i8 v119, v115, v8
	v_and_b32_e32 v120, 0x100000, v120
	v_cvt_f32_i32_e32 v115, v119
	v_lshlrev_b32_e32 v119, 11, v114
	v_fma_f32 v115, v116, v115, v113
	v_and_b32_e32 v119, 0x1000, v119
	v_add_f32_e32 v115, v115, v117
	v_lshrrev_b32_e32 v117, 4, v118
	v_lshlrev_b32_e32 v118, 4, v114
	v_lshlrev_b32_e32 v114, 25, v114
	v_and_b32_e32 v117, 0xf0f0f0f, v117
	v_and_b32_e32 v118, 16, v118
	;; [unrolled: 1-line block ×3, first 2 shown]
	v_or3_b32 v114, v120, v114, v118
	v_or3_b32 v114, v114, v119, v117
	v_mov_b32_e32 v117, 0
	v_dot4c_i32_i8 v117, v114, v9
	v_cvt_f32_i32_e32 v114, v117
	v_fmac_f32_e32 v113, v116, v114
	s_clause 0x1
	global_load_dword v114, v[111:112], off offset:32
	global_load_dword v111, v[111:112], off offset:40
	v_ashrrev_i32_e32 v116, v21, v110
	v_add_f32_e32 v113, v115, v113
	v_lshlrev_b32_e32 v117, 4, v116
	v_lshlrev_b32_e32 v118, 11, v116
	;; [unrolled: 1-line block ×4, first 2 shown]
	v_and_b32_e32 v117, 16, v117
	v_and_b32_e32 v118, 0x1000, v118
	;; [unrolled: 1-line block ×4, first 2 shown]
	s_waitcnt vmcnt(1)
	v_and_b32_e32 v115, 0xf0f0f0f, v114
	s_waitcnt vmcnt(0)
	v_and_b32_e32 v112, 0xf0f0f0f, v111
	v_lshrrev_b32_e32 v111, 4, v111
	v_or3_b32 v115, v116, v115, v119
	v_mov_b32_e32 v116, 0
	v_and_b32_e32 v111, 0xf0f0f0f, v111
	v_or3_b32 v115, v115, v117, v118
	v_dot4c_i32_i8 v116, v115, v10
	v_cvt_f32_f16_e32 v115, v109
	v_cvt_f32_f16_sdwa v109, v109 dst_sel:DWORD dst_unused:UNUSED_PAD src0_sel:WORD_1
	v_cvt_f32_i32_e32 v116, v116
	v_mul_f32_e32 v115, v4, v115
	v_mul_f32_e32 v109, v5, v109
	;; [unrolled: 1-line block ×3, first 2 shown]
	v_fma_f32 v116, v115, v116, v109
	v_add_f32_e32 v113, v113, v116
	v_ashrrev_i32_e32 v116, v102, v110
	v_lshlrev_b32_e32 v117, 4, v116
	v_lshlrev_b32_e32 v118, 11, v116
	;; [unrolled: 1-line block ×4, first 2 shown]
	v_and_b32_e32 v117, 16, v117
	v_and_b32_e32 v118, 0x1000, v118
	;; [unrolled: 1-line block ×4, first 2 shown]
	v_or3_b32 v116, v119, v116, v117
	v_or3_b32 v112, v116, v118, v112
	v_mov_b32_e32 v116, 0
	v_dot4c_i32_i8 v116, v112, v11
	v_cvt_f32_i32_e32 v112, v116
	v_fma_f32 v112, v115, v112, v109
	v_add_f32_e32 v112, v113, v112
	v_lshrrev_b32_e32 v113, 4, v114
	v_ashrrev_i32_e32 v114, v103, v110
	v_ashrrev_i32_e32 v110, v104, v110
	v_and_b32_e32 v113, 0xf0f0f0f, v113
	v_lshlrev_b32_e32 v116, 4, v114
	v_lshlrev_b32_e32 v117, 11, v114
	;; [unrolled: 1-line block ×4, first 2 shown]
	v_and_b32_e32 v116, 16, v116
	v_and_b32_e32 v117, 0x1000, v117
	v_and_b32_e32 v118, 0x100000, v118
	v_and_b32_e32 v114, 0x10000000, v114
	v_or3_b32 v113, v114, v113, v118
	v_mov_b32_e32 v114, 0
	v_or3_b32 v113, v113, v116, v117
	v_lshlrev_b32_e32 v116, 18, v110
	v_dot4c_i32_i8 v114, v113, v12
	v_and_b32_e32 v116, 0x100000, v116
	v_cvt_f32_i32_e32 v113, v114
	v_lshlrev_b32_e32 v114, 11, v110
	v_fma_f32 v113, v115, v113, v109
	v_and_b32_e32 v114, 0x1000, v114
	v_add_f32_e32 v112, v113, v112
	v_lshlrev_b32_e32 v113, 4, v110
	v_lshlrev_b32_e32 v110, 25, v110
	v_and_b32_e32 v113, 16, v113
	v_and_b32_e32 v110, 0x10000000, v110
	v_or3_b32 v110, v116, v110, v113
	v_or3_b32 v110, v110, v114, v111
	v_mov_b32_e32 v111, 0
	v_dot4c_i32_i8 v111, v110, v13
	v_cvt_f32_i32_e32 v110, v111
	v_fmac_f32_e32 v109, v115, v110
	v_add_f32_e32 v109, v112, v109
	ds_bpermute_b32 v110, v23, v109
	s_waitcnt lgkmcnt(0)
	v_add_f32_e32 v109, v109, v110
	s_cbranch_vccz .LBB0_21
; %bb.20:                               ;   in Loop: Header=BB0_19 Depth=1
	global_load_ushort v110, v[14:15], off offset:-2
	s_waitcnt vmcnt(0)
	v_fma_mix_f32 v109, v16, v110, v109 op_sel_hi:[0,1,0]
.LBB0_21:                               ;   in Loop: Header=BB0_19 Depth=1
	v_add_co_u32 v110, vcc_lo, v32, s23
	v_add_co_ci_u32_e64 v111, null, 0, v33, vcc_lo
	v_add_co_u32 v112, vcc_lo, v30, s23
	v_add_co_ci_u32_e64 v113, null, 0, v31, vcc_lo
	s_clause 0x1
	global_load_dwordx2 v[114:115], v[110:111], off
	global_load_dwordx2 v[110:111], v[110:111], off offset:24
	s_andn2_b32 vcc_lo, exec_lo, s35
	global_load_dword v116, v[112:113], off offset:8
	s_waitcnt vmcnt(2)
	v_ashrrev_i32_e32 v118, v21, v115
	s_waitcnt vmcnt(0)
	v_and_b32_e32 v117, 0xf0f0f0f, v116
	v_lshrrev_b32_e32 v116, 4, v116
	v_lshlrev_b32_e32 v119, 4, v118
	v_lshlrev_b32_e32 v120, 11, v118
	;; [unrolled: 1-line block ×4, first 2 shown]
	v_and_b32_e32 v116, 0xf0f0f0f, v116
	v_and_b32_e32 v119, 16, v119
	;; [unrolled: 1-line block ×5, first 2 shown]
	v_or3_b32 v117, v118, v117, v121
	v_ashrrev_i32_e32 v121, v102, v115
	v_mov_b32_e32 v118, 0
	v_or3_b32 v117, v117, v119, v120
	global_load_dword v119, v[112:113], off offset:16
	v_lshlrev_b32_e32 v122, 4, v121
	v_lshlrev_b32_e32 v123, 11, v121
	v_lshlrev_b32_e32 v124, 18, v121
	v_lshlrev_b32_e32 v121, 25, v121
	v_dot4c_i32_i8 v118, v117, v6
	v_and_b32_e32 v122, 16, v122
	v_cvt_f32_f16_e32 v117, v114
	v_and_b32_e32 v124, 0x100000, v124
	v_and_b32_e32 v121, 0x10000000, v121
	v_cvt_f32_f16_sdwa v114, v114 dst_sel:DWORD dst_unused:UNUSED_PAD src0_sel:WORD_1
	v_and_b32_e32 v123, 0x1000, v123
	v_mul_f32_e32 v117, v2, v117
	v_cvt_f32_i32_e32 v118, v118
	v_or3_b32 v121, v124, v121, v122
	v_mul_f32_e32 v114, v3, v114
	v_mul_f32_e32 v114, 0x3e000000, v114
	v_fma_f32 v118, v117, v118, v114
	v_add_f32_e32 v118, 0, v118
	s_waitcnt vmcnt(0)
	v_and_b32_e32 v120, 0xf0f0f0f, v119
	v_or3_b32 v120, v121, v123, v120
	v_mov_b32_e32 v121, 0
	v_dot4c_i32_i8 v121, v120, v7
	v_cvt_f32_i32_e32 v120, v121
	v_fma_f32 v120, v117, v120, v114
	v_add_f32_e32 v118, v118, v120
	v_ashrrev_i32_e32 v120, v103, v115
	v_ashrrev_i32_e32 v115, v104, v115
	v_lshlrev_b32_e32 v121, 4, v120
	v_lshlrev_b32_e32 v122, 11, v120
	;; [unrolled: 1-line block ×4, first 2 shown]
	v_and_b32_e32 v121, 16, v121
	v_and_b32_e32 v122, 0x1000, v122
	;; [unrolled: 1-line block ×4, first 2 shown]
	v_or3_b32 v116, v120, v116, v123
	v_mov_b32_e32 v120, 0
	v_or3_b32 v116, v116, v121, v122
	v_lshlrev_b32_e32 v121, 18, v115
	v_dot4c_i32_i8 v120, v116, v8
	v_and_b32_e32 v121, 0x100000, v121
	v_cvt_f32_i32_e32 v116, v120
	v_lshlrev_b32_e32 v120, 11, v115
	v_fma_f32 v116, v117, v116, v114
	v_and_b32_e32 v120, 0x1000, v120
	v_add_f32_e32 v116, v116, v118
	v_lshrrev_b32_e32 v118, 4, v119
	v_lshlrev_b32_e32 v119, 4, v115
	v_lshlrev_b32_e32 v115, 25, v115
	v_and_b32_e32 v118, 0xf0f0f0f, v118
	v_and_b32_e32 v119, 16, v119
	v_and_b32_e32 v115, 0x10000000, v115
	v_or3_b32 v115, v121, v115, v119
	v_or3_b32 v115, v115, v120, v118
	v_mov_b32_e32 v118, 0
	v_dot4c_i32_i8 v118, v115, v9
	v_cvt_f32_i32_e32 v115, v118
	v_fmac_f32_e32 v114, v117, v115
	s_clause 0x1
	global_load_dword v115, v[112:113], off offset:32
	global_load_dword v112, v[112:113], off offset:40
	v_ashrrev_i32_e32 v117, v21, v111
	v_add_f32_e32 v114, v116, v114
	v_lshlrev_b32_e32 v118, 4, v117
	v_lshlrev_b32_e32 v119, 11, v117
	;; [unrolled: 1-line block ×4, first 2 shown]
	v_and_b32_e32 v118, 16, v118
	v_and_b32_e32 v119, 0x1000, v119
	;; [unrolled: 1-line block ×4, first 2 shown]
	s_waitcnt vmcnt(1)
	v_and_b32_e32 v116, 0xf0f0f0f, v115
	s_waitcnt vmcnt(0)
	v_and_b32_e32 v113, 0xf0f0f0f, v112
	v_lshrrev_b32_e32 v112, 4, v112
	v_or3_b32 v116, v117, v116, v120
	v_mov_b32_e32 v117, 0
	v_and_b32_e32 v112, 0xf0f0f0f, v112
	v_or3_b32 v116, v116, v118, v119
	v_dot4c_i32_i8 v117, v116, v10
	v_cvt_f32_f16_e32 v116, v110
	v_cvt_f32_f16_sdwa v110, v110 dst_sel:DWORD dst_unused:UNUSED_PAD src0_sel:WORD_1
	v_cvt_f32_i32_e32 v117, v117
	v_mul_f32_e32 v116, v4, v116
	v_mul_f32_e32 v110, v5, v110
	v_mul_f32_e32 v110, 0x3e000000, v110
	v_fma_f32 v117, v116, v117, v110
	v_add_f32_e32 v114, v114, v117
	v_ashrrev_i32_e32 v117, v102, v111
	v_lshlrev_b32_e32 v118, 4, v117
	v_lshlrev_b32_e32 v119, 11, v117
	;; [unrolled: 1-line block ×4, first 2 shown]
	v_and_b32_e32 v118, 16, v118
	v_and_b32_e32 v119, 0x1000, v119
	;; [unrolled: 1-line block ×4, first 2 shown]
	v_or3_b32 v117, v120, v117, v118
	v_or3_b32 v113, v117, v119, v113
	v_mov_b32_e32 v117, 0
	v_dot4c_i32_i8 v117, v113, v11
	v_cvt_f32_i32_e32 v113, v117
	v_fma_f32 v113, v116, v113, v110
	v_add_f32_e32 v113, v114, v113
	v_lshrrev_b32_e32 v114, 4, v115
	v_ashrrev_i32_e32 v115, v103, v111
	v_ashrrev_i32_e32 v111, v104, v111
	v_and_b32_e32 v114, 0xf0f0f0f, v114
	v_lshlrev_b32_e32 v117, 4, v115
	v_lshlrev_b32_e32 v118, 11, v115
	;; [unrolled: 1-line block ×4, first 2 shown]
	v_and_b32_e32 v117, 16, v117
	v_and_b32_e32 v118, 0x1000, v118
	;; [unrolled: 1-line block ×4, first 2 shown]
	v_or3_b32 v114, v115, v114, v119
	v_mov_b32_e32 v115, 0
	v_or3_b32 v114, v114, v117, v118
	v_lshlrev_b32_e32 v117, 18, v111
	v_dot4c_i32_i8 v115, v114, v12
	v_and_b32_e32 v117, 0x100000, v117
	v_cvt_f32_i32_e32 v114, v115
	v_lshlrev_b32_e32 v115, 11, v111
	v_fma_f32 v114, v116, v114, v110
	v_and_b32_e32 v115, 0x1000, v115
	v_add_f32_e32 v113, v114, v113
	v_lshlrev_b32_e32 v114, 4, v111
	v_lshlrev_b32_e32 v111, 25, v111
	v_and_b32_e32 v114, 16, v114
	v_and_b32_e32 v111, 0x10000000, v111
	v_or3_b32 v111, v117, v111, v114
	v_or3_b32 v111, v111, v115, v112
	v_mov_b32_e32 v112, 0
	v_dot4c_i32_i8 v112, v111, v13
	v_cvt_f32_i32_e32 v111, v112
	v_fmac_f32_e32 v110, v116, v111
	v_add_f32_e32 v110, v113, v110
	ds_bpermute_b32 v111, v23, v110
	s_waitcnt lgkmcnt(0)
	v_add_f32_e32 v110, v110, v111
	s_cbranch_vccnz .LBB0_23
; %bb.22:                               ;   in Loop: Header=BB0_19 Depth=1
	global_load_ushort v111, v[14:15], off
	s_waitcnt vmcnt(0)
	v_fma_mix_f32 v110, v16, v111, v110 op_sel_hi:[0,1,0]
.LBB0_23:                               ;   in Loop: Header=BB0_19 Depth=1
	v_add_co_u32 v111, vcc_lo, v38, s38
	v_add_co_ci_u32_e64 v112, null, 0, v39, vcc_lo
	v_add_co_u32 v113, s10, v34, s38
	v_add_co_ci_u32_e64 v114, null, 0, v35, s10
	global_load_dword v112, v[111:112], off offset:2
	v_add_f32_e32 v111, 0x40051340, v109
	v_add_f32_e32 v118, 0x40051340, v110
	global_load_ushort v133, v[113:114], off
	v_add_co_u32 v117, s9, v100, s38
	v_cndmask_b32_e64 v110, v110, v109, s1
	v_max3_f32 v109, v108, v111, v118
	v_add_co_ci_u32_e64 v118, null, 0, v101, s9
	v_add_co_u32 v115, s12, v42, s38
	v_add_co_ci_u32_e64 v116, null, 0, v43, s12
	global_load_dword v134, v[117:118], off offset:2
	ds_bpermute_b32 v111, v24, v109
	v_add_co_u32 v119, s8, v98, s38
	global_load_ushort v131, v[115:116], off
	v_add_co_u32 v121, s3, v96, s38
	v_add_co_ci_u32_e64 v120, null, 0, v99, s8
	v_add_co_ci_u32_e64 v122, null, 0, v97, s3
	v_add_co_u32 v123, s2, v94, s38
	v_add_co_u32 v135, s15, v90, s38
	;; [unrolled: 1-line block ×3, first 2 shown]
	v_add_co_u32 v127, vcc_lo, v92, s38
	v_add_co_u32 v139, s14, v86, s38
	s_waitcnt lgkmcnt(0)
	v_max_f32_e32 v111, v111, v111
	v_add_co_u32 v141, s11, v84, s38
	v_add_co_ci_u32_e64 v124, null, 0, v95, s2
	v_max_f32_e32 v109, v109, v111
	v_add_co_ci_u32_e64 v136, null, 0, v91, s15
	v_add_co_ci_u32_e64 v138, null, 0, v89, s13
	ds_bpermute_b32 v111, v25, v109
	v_add_co_u32 v143, s10, v82, s38
	v_add_co_ci_u32_e64 v128, null, 0, v93, vcc_lo
	global_load_ushort v126, v[119:120], off
	global_load_dword v129, v[121:122], off offset:2
	v_add_co_ci_u32_e64 v140, null, 0, v87, s14
	v_add_co_u32 v145, s12, v80, s38
	v_add_co_ci_u32_e64 v142, null, 0, v85, s11
	v_add_co_ci_u32_e64 v144, null, 0, v83, s10
	;; [unrolled: 1-line block ×3, first 2 shown]
	v_add_co_u32 v147, s16, v78, s38
	v_add_co_u32 v119, vcc_lo, v74, s38
	s_waitcnt lgkmcnt(0)
	v_max_f32_e32 v111, v111, v111
	global_load_ushort v113, v[123:124], off
	global_load_dword v115, v[127:128], off offset:2
	v_add_co_u32 v127, s2, v72, s38
	global_load_ushort v114, v[135:136], off
	v_max_f32_e32 v109, v109, v111
	global_load_dword v124, v[137:138], off offset:2
	v_add_co_u32 v135, s3, v70, s38
	v_add_co_u32 v137, s8, v68, s38
	ds_bpermute_b32 v111, v26, v109
	v_add_co_u32 v149, s17, v76, s38
	global_load_ushort v118, v[139:140], off
	v_add_co_u32 v139, s9, v66, s38
	global_load_dword v130, v[141:142], off offset:2
	v_add_co_ci_u32_e64 v148, null, 0, v79, s16
	v_add_co_u32 v141, s10, v64, s38
	v_add_co_ci_u32_e64 v120, null, 0, v75, vcc_lo
	v_add_co_ci_u32_e64 v128, null, 0, v73, s2
	v_add_co_ci_u32_e64 v136, null, 0, v71, s3
	;; [unrolled: 1-line block ×4, first 2 shown]
	s_waitcnt lgkmcnt(0)
	v_max_f32_e32 v111, v111, v111
	global_load_ushort v116, v[143:144], off
	global_load_dword v121, v[145:146], off offset:2
	v_add_co_u32 v143, vcc_lo, v62, s38
	v_add_co_ci_u32_e64 v140, null, 0, v67, s9
	v_max_f32_e32 v109, v109, v111
	v_add_co_u32 v145, s2, v60, s38
	v_add_co_ci_u32_e64 v142, null, 0, v65, s10
	ds_bpermute_b32 v111, v27, v109
	v_add_co_ci_u32_e64 v144, null, 0, v63, vcc_lo
	v_add_co_ci_u32_e64 v146, null, 0, v61, s2
	global_load_ushort v117, v[147:148], off
	global_load_dword v122, v[149:150], off offset:2
	global_load_ushort v119, v[119:120], off
	global_load_dword v128, v[127:128], off offset:2
	global_load_ushort v120, v[135:136], off
	global_load_dword v138, v[137:138], off offset:2
	global_load_ushort v135, v[139:140], off
	global_load_dword v136, v[141:142], off offset:2
	v_add_co_u32 v140, vcc_lo, v58, s38
	v_add_co_u32 v142, s2, v56, s38
	v_add_co_ci_u32_e64 v141, null, 0, v59, vcc_lo
	global_load_ushort v132, v[143:144], off
	global_load_dword v139, v[145:146], off offset:2
	v_add_co_ci_u32_e64 v143, null, 0, v57, s2
	global_load_ushort v125, v[140:141], off
	global_load_dword v127, v[142:143], off offset:2
	v_add_co_u32 v140, vcc_lo, v54, s38
	v_add_co_ci_u32_e64 v141, null, 0, v55, vcc_lo
	s_waitcnt lgkmcnt(0)
	v_max_f32_e32 v111, v111, v111
	s_add_i32 s22, s22, s36
	global_load_ushort v123, v[140:141], off
	v_add_co_u32 v140, vcc_lo, v52, s38
	v_add_co_ci_u32_e64 v141, null, 0, v53, vcc_lo
	v_max_f32_e32 v109, v109, v111
	s_cmp_ge_i32 s22, s34
	global_load_dword v137, v[140:141], off offset:2
	v_add_co_u32 v140, vcc_lo, v50, s38
	v_add_co_ci_u32_e64 v141, null, 0, v51, vcc_lo
	v_sub_f32_e32 v108, v108, v109
	global_load_ushort v111, v[140:141], off
	v_mul_f32_e32 v140, 0x3fb8aa3b, v108
	v_cmp_ngt_f32_e32 vcc_lo, 0xc2ce8ed0, v108
	v_cmp_nlt_f32_e64 s2, 0x42b17218, v108
	v_fma_f32 v141, 0x3fb8aa3b, v108, -v140
	v_fmac_f32_e32 v141, 0x32a5705f, v108
	v_sub_f32_e32 v108, v110, v109
	v_mul_f32_e32 v110, 0x3fb8aa3b, v108
	v_cmp_ngt_f32_e64 s3, 0xc2ce8ed0, v108
	v_cmp_nlt_f32_e64 s8, 0x42b17218, v108
	v_fma_f32 v142, 0x3fb8aa3b, v108, -v110
	v_fmac_f32_e32 v142, 0x32a5705f, v108
	v_rndne_f32_e32 v108, v110
	v_sub_f32_e32 v110, v110, v108
	v_cvt_i32_f32_e32 v108, v108
	v_add_f32_e32 v110, v110, v142
	v_rndne_f32_e32 v142, v140
	v_exp_f32_e32 v110, v110
	v_sub_f32_e32 v140, v140, v142
	v_add_f32_e32 v140, v140, v141
	v_ldexp_f32 v108, v110, v108
	v_exp_f32_e32 v110, v140
	v_cvt_i32_f32_e32 v140, v142
	v_cndmask_b32_e64 v108, 0, v108, s3
	v_cndmask_b32_e64 v108, 0x7f800000, v108, s8
	v_ldexp_f32 v110, v110, v140
	v_cvt_f16_f32_e32 v140, v108
	v_cndmask_b32_e32 v110, 0, v110, vcc_lo
	ds_write_b16 v18, v140
	v_cndmask_b32_e64 v110, 0x7f800000, v110, s2
	v_cvt_f16_f32_e32 v140, v110
	v_fma_f32 v22, v22, v110, v108
	v_mul_u32_u24_sdwa v140, v140, v105 dst_sel:DWORD dst_unused:UNUSED_PAD src0_sel:WORD_0 src1_sel:DWORD
	v_pk_mul_f16 v107, v107, v140
	v_pk_mul_f16 v106, v106, v140
	s_waitcnt vmcnt(28)
	v_pk_lshrrev_b16 v140, 8, v112 op_sel:[1,0] op_sel_hi:[0,0]
	v_pk_lshrrev_b16 v112, 8, v112 op_sel:[1,1] op_sel_hi:[0,1]
	s_waitcnt vmcnt(27)
	v_mul_u32_u24_e32 v133, 0x10001, v133
	v_lshrrev_b32_e32 v141, 16, v140
	v_cvt_f16_i16_sdwa v140, sext(v140) dst_sel:DWORD dst_unused:UNUSED_PAD src0_sel:BYTE_0
	v_cvt_f16_i16_sdwa v141, sext(v141) dst_sel:DWORD dst_unused:UNUSED_PAD src0_sel:BYTE_0
	v_pack_b32_f16 v140, v140, v141
	v_lshrrev_b32_e32 v141, 16, v112
	v_cvt_f16_i16_sdwa v112, sext(v112) dst_sel:DWORD dst_unused:UNUSED_PAD src0_sel:BYTE_0
	s_waitcnt vmcnt(25)
	v_mul_u32_u24_e32 v131, 0x10001, v131
	v_pk_mul_f16 v140, v140, v133
	v_cvt_f16_i16_sdwa v141, sext(v141) dst_sel:DWORD dst_unused:UNUSED_PAD src0_sel:BYTE_0
	v_pack_b32_f16 v112, v112, v141
	v_pk_mul_f16 v112, v112, v133
	ds_read_u16 v133, v28
	s_waitcnt vmcnt(24)
	v_mul_u32_u24_e32 v126, 0x10001, v126
	s_waitcnt lgkmcnt(0)
	v_mul_u32_u24_e32 v133, 0x10001, v133
	v_pk_fma_f16 v140, v140, v133, v107
	v_pk_fma_f16 v133, v112, v133, v106
	v_add_co_u32 v106, vcc_lo, v48, s38
	v_add_co_ci_u32_e64 v107, null, 0, v49, vcc_lo
	s_waitcnt vmcnt(22)
	v_mul_u32_u24_e32 v113, 0x10001, v113
	global_load_dword v112, v[106:107], off offset:2
	v_add_co_u32 v106, vcc_lo, v44, s38
	v_add_co_ci_u32_e64 v107, null, 0, v45, vcc_lo
	s_waitcnt vmcnt(21)
	v_mul_u32_u24_e32 v114, 0x10001, v114
	global_load_dword v106, v[106:107], off offset:2
	v_pk_lshrrev_b16 v107, 8, v134 op_sel:[1,0] op_sel_hi:[0,0]
	v_pk_lshrrev_b16 v134, 8, v134 op_sel:[1,1] op_sel_hi:[0,1]
	s_waitcnt vmcnt(20)
	v_mul_u32_u24_e32 v118, 0x10001, v118
	v_lshrrev_b32_e32 v141, 16, v107
	v_cvt_f16_i16_sdwa v107, sext(v107) dst_sel:DWORD dst_unused:UNUSED_PAD src0_sel:BYTE_0
	v_cvt_f16_i16_sdwa v141, sext(v141) dst_sel:DWORD dst_unused:UNUSED_PAD src0_sel:BYTE_0
	v_pack_b32_f16 v107, v107, v141
	v_lshrrev_b32_e32 v141, 16, v134
	v_cvt_f16_i16_sdwa v134, sext(v134) dst_sel:DWORD dst_unused:UNUSED_PAD src0_sel:BYTE_0
	v_pk_mul_f16 v107, v107, v131
	v_cvt_f16_i16_sdwa v141, sext(v141) dst_sel:DWORD dst_unused:UNUSED_PAD src0_sel:BYTE_0
	s_waitcnt vmcnt(18)
	v_mul_u32_u24_e32 v116, 0x10001, v116
	v_pack_b32_f16 v134, v134, v141
	v_pk_mul_f16 v131, v134, v131
	ds_read_u16 v134, v29 offset:4
	s_waitcnt vmcnt(16)
	v_mul_u32_u24_e32 v117, 0x10001, v117
	s_waitcnt vmcnt(14)
	v_mul_u32_u24_e32 v119, 0x10001, v119
	;; [unrolled: 2-line block ×4, first 2 shown]
	s_waitcnt lgkmcnt(0)
	v_mul_u32_u24_e32 v134, 0x10001, v134
	v_pk_fma_f16 v131, v131, v134, v133
	v_add_co_u32 v133, vcc_lo, v46, s38
	v_pk_fma_f16 v140, v107, v134, v140
	v_add_co_ci_u32_e64 v134, null, 0, v47, vcc_lo
	v_add_co_u32 v30, vcc_lo, v30, s37
	v_add_co_ci_u32_e64 v31, null, 0, v31, vcc_lo
	global_load_ushort v107, v[133:134], off
	v_pk_lshrrev_b16 v133, 8, v129 op_sel:[1,0] op_sel_hi:[0,0]
	v_pk_lshrrev_b16 v129, 8, v129 op_sel:[1,1] op_sel_hi:[0,1]
	v_add_co_u32 v14, vcc_lo, v14, s18
	v_add_co_ci_u32_e64 v15, null, s19, v15, vcc_lo
	v_lshrrev_b32_e32 v134, 16, v133
	v_cvt_f16_i16_sdwa v133, sext(v133) dst_sel:DWORD dst_unused:UNUSED_PAD src0_sel:BYTE_0
	v_add_co_u32 v32, vcc_lo, v32, s37
	v_add_co_ci_u32_e64 v33, null, 0, v33, vcc_lo
	v_cvt_f16_i16_sdwa v134, sext(v134) dst_sel:DWORD dst_unused:UNUSED_PAD src0_sel:BYTE_0
	v_add_co_u32 v34, vcc_lo, v34, s39
	v_add_co_ci_u32_e64 v35, null, 0, v35, vcc_lo
	v_pack_b32_f16 v133, v133, v134
	v_lshrrev_b32_e32 v134, 16, v129
	v_cvt_f16_i16_sdwa v129, sext(v129) dst_sel:DWORD dst_unused:UNUSED_PAD src0_sel:BYTE_0
	v_add_co_u32 v36, vcc_lo, v36, s37
	v_pk_mul_f16 v133, v133, v126
	v_cvt_f16_i16_sdwa v134, sext(v134) dst_sel:DWORD dst_unused:UNUSED_PAD src0_sel:BYTE_0
	v_add_co_ci_u32_e64 v37, null, 0, v37, vcc_lo
	v_add_co_u32 v38, vcc_lo, v38, s39
	v_pack_b32_f16 v129, v129, v134
	v_pk_lshrrev_b16 v134, 8, v115 op_sel:[1,0] op_sel_hi:[0,0]
	v_pk_lshrrev_b16 v115, 8, v115 op_sel:[1,1] op_sel_hi:[0,1]
	v_add_co_ci_u32_e64 v39, null, 0, v39, vcc_lo
	v_pk_mul_f16 v126, v129, v126
	ds_read_u16 v129, v29 offset:8
	v_add_co_u32 v40, vcc_lo, v40, s37
	v_add_co_ci_u32_e64 v41, null, 0, v41, vcc_lo
	v_add_co_u32 v42, vcc_lo, v42, s39
	v_add_co_ci_u32_e64 v43, null, 0, v43, vcc_lo
	;; [unrolled: 2-line block ×5, first 2 shown]
	s_waitcnt lgkmcnt(0)
	v_mul_u32_u24_e32 v129, 0x10001, v129
	v_add_co_u32 v50, vcc_lo, v50, s39
	v_add_co_ci_u32_e64 v51, null, 0, v51, vcc_lo
	v_pk_fma_f16 v133, v133, v129, v140
	v_pk_fma_f16 v126, v126, v129, v131
	v_lshrrev_b32_e32 v129, 16, v134
	ds_read_u16 v131, v29 offset:12
	v_cvt_f16_i16_sdwa v134, sext(v134) dst_sel:DWORD dst_unused:UNUSED_PAD src0_sel:BYTE_0
	v_add_co_u32 v52, vcc_lo, v52, s39
	v_cvt_f16_i16_sdwa v129, sext(v129) dst_sel:DWORD dst_unused:UNUSED_PAD src0_sel:BYTE_0
	v_add_co_ci_u32_e64 v53, null, 0, v53, vcc_lo
	v_add_co_u32 v54, vcc_lo, v54, s39
	v_pack_b32_f16 v129, v134, v129
	v_lshrrev_b32_e32 v134, 16, v115
	v_cvt_f16_i16_sdwa v115, sext(v115) dst_sel:DWORD dst_unused:UNUSED_PAD src0_sel:BYTE_0
	v_add_co_ci_u32_e64 v55, null, 0, v55, vcc_lo
	v_pk_mul_f16 v129, v129, v113
	v_cvt_f16_i16_sdwa v134, sext(v134) dst_sel:DWORD dst_unused:UNUSED_PAD src0_sel:BYTE_0
	v_add_co_u32 v56, vcc_lo, v56, s39
	v_add_co_ci_u32_e64 v57, null, 0, v57, vcc_lo
	v_pack_b32_f16 v115, v115, v134
	v_pk_lshrrev_b16 v134, 8, v124 op_sel:[1,0] op_sel_hi:[0,0]
	s_waitcnt lgkmcnt(0)
	v_mul_u32_u24_e32 v131, 0x10001, v131
	v_pk_lshrrev_b16 v124, 8, v124 op_sel:[1,1] op_sel_hi:[0,1]
	v_add_co_u32 v58, vcc_lo, v58, s39
	v_pk_mul_f16 v113, v115, v113
	v_lshrrev_b32_e32 v115, 16, v134
	v_pk_fma_f16 v129, v129, v131, v133
	v_pk_lshrrev_b16 v133, 8, v130 op_sel:[1,0] op_sel_hi:[0,0]
	v_cvt_f16_i16_sdwa v134, sext(v134) dst_sel:DWORD dst_unused:UNUSED_PAD src0_sel:BYTE_0
	v_pk_fma_f16 v113, v113, v131, v126
	v_cvt_f16_i16_sdwa v115, sext(v115) dst_sel:DWORD dst_unused:UNUSED_PAD src0_sel:BYTE_0
	ds_read_u16 v126, v28 offset:16
	v_lshrrev_b32_e32 v131, 16, v124
	v_cvt_f16_i16_sdwa v124, sext(v124) dst_sel:DWORD dst_unused:UNUSED_PAD src0_sel:BYTE_0
	v_pk_lshrrev_b16 v130, 8, v130 op_sel:[1,1] op_sel_hi:[0,1]
	v_pack_b32_f16 v115, v134, v115
	v_lshrrev_b32_e32 v134, 16, v133
	v_cvt_f16_i16_sdwa v133, sext(v133) dst_sel:DWORD dst_unused:UNUSED_PAD src0_sel:BYTE_0
	v_cvt_f16_i16_sdwa v131, sext(v131) dst_sel:DWORD dst_unused:UNUSED_PAD src0_sel:BYTE_0
	v_add_co_ci_u32_e64 v59, null, 0, v59, vcc_lo
	v_cvt_f16_i16_sdwa v134, sext(v134) dst_sel:DWORD dst_unused:UNUSED_PAD src0_sel:BYTE_0
	v_pk_mul_f16 v115, v115, v114
	v_pack_b32_f16 v124, v124, v131
	v_lshrrev_b32_e32 v131, 16, v130
	v_cvt_f16_i16_sdwa v130, sext(v130) dst_sel:DWORD dst_unused:UNUSED_PAD src0_sel:BYTE_0
	v_pack_b32_f16 v133, v133, v134
	ds_read_u16 v134, v29 offset:20
	v_pk_mul_f16 v114, v124, v114
	v_cvt_f16_i16_sdwa v131, sext(v131) dst_sel:DWORD dst_unused:UNUSED_PAD src0_sel:BYTE_0
	ds_read_u16 v124, v29 offset:24
	v_pk_mul_f16 v133, v133, v118
	v_add_co_u32 v60, vcc_lo, v60, s39
	v_pack_b32_f16 v130, v130, v131
	ds_read_u16 v131, v28 offset:32
	s_waitcnt lgkmcnt(3)
	v_mul_u32_u24_e32 v126, 0x10001, v126
	s_waitcnt vmcnt(5)
	v_mul_u32_u24_e32 v123, 0x10001, v123
	v_add_co_ci_u32_e64 v61, null, 0, v61, vcc_lo
	v_pk_mul_f16 v118, v130, v118
	v_pk_fma_f16 v115, v115, v126, v129
	v_pk_lshrrev_b16 v129, 8, v121 op_sel:[1,0] op_sel_hi:[0,0]
	v_pk_fma_f16 v113, v114, v126, v113
	ds_read_u16 v114, v29 offset:28
	ds_read_u16 v126, v29 offset:36
	v_pk_lshrrev_b16 v121, 8, v121 op_sel:[1,1] op_sel_hi:[0,1]
	v_add_co_u32 v62, vcc_lo, v62, s39
	s_waitcnt lgkmcnt(4)
	v_mul_u32_u24_e32 v134, 0x10001, v134
	v_lshrrev_b32_e32 v130, 16, v129
	v_cvt_f16_i16_sdwa v129, sext(v129) dst_sel:DWORD dst_unused:UNUSED_PAD src0_sel:BYTE_0
	s_waitcnt lgkmcnt(3)
	v_mul_u32_u24_e32 v124, 0x10001, v124
	v_add_co_ci_u32_e64 v63, null, 0, v63, vcc_lo
	v_pk_fma_f16 v113, v118, v134, v113
	v_lshrrev_b32_e32 v118, 16, v121
	v_cvt_f16_i16_sdwa v130, sext(v130) dst_sel:DWORD dst_unused:UNUSED_PAD src0_sel:BYTE_0
	v_cvt_f16_i16_sdwa v121, sext(v121) dst_sel:DWORD dst_unused:UNUSED_PAD src0_sel:BYTE_0
	v_pk_fma_f16 v115, v133, v134, v115
	ds_read_u16 v133, v28 offset:48
	ds_read_u16 v134, v29 offset:40
	v_cvt_f16_i16_sdwa v118, sext(v118) dst_sel:DWORD dst_unused:UNUSED_PAD src0_sel:BYTE_0
	v_pack_b32_f16 v129, v129, v130
	s_waitcnt lgkmcnt(3)
	v_mul_u32_u24_e32 v114, 0x10001, v114
	ds_read_u16 v130, v29 offset:44
	v_mul_u32_u24_e32 v131, 0x10001, v131
	v_pack_b32_f16 v118, v121, v118
	s_waitcnt lgkmcnt(3)
	v_mul_u32_u24_e32 v121, 0x10001, v126
	v_pk_mul_f16 v126, v129, v116
	v_pk_lshrrev_b16 v129, 8, v122 op_sel:[1,0] op_sel_hi:[0,0]
	v_pk_lshrrev_b16 v122, 8, v122 op_sel:[1,1] op_sel_hi:[0,1]
	v_pk_mul_f16 v116, v118, v116
	v_pk_lshrrev_b16 v118, 8, v128 op_sel:[1,0] op_sel_hi:[0,0]
	v_pk_fma_f16 v115, v126, v124, v115
	v_lshrrev_b32_e32 v126, 16, v129
	v_pk_lshrrev_b16 v128, 8, v128 op_sel:[1,1] op_sel_hi:[0,1]
	v_pk_fma_f16 v113, v116, v124, v113
	v_lshrrev_b32_e32 v116, 16, v122
	v_cvt_f16_i16_sdwa v124, sext(v129) dst_sel:DWORD dst_unused:UNUSED_PAD src0_sel:BYTE_0
	v_cvt_f16_i16_sdwa v126, sext(v126) dst_sel:DWORD dst_unused:UNUSED_PAD src0_sel:BYTE_0
	;; [unrolled: 1-line block ×3, first 2 shown]
	v_lshrrev_b32_e32 v129, 16, v118
	v_cvt_f16_i16_sdwa v116, sext(v116) dst_sel:DWORD dst_unused:UNUSED_PAD src0_sel:BYTE_0
	v_cvt_f16_i16_sdwa v118, sext(v118) dst_sel:DWORD dst_unused:UNUSED_PAD src0_sel:BYTE_0
	v_pack_b32_f16 v124, v124, v126
	v_lshrrev_b32_e32 v126, 16, v128
	v_cvt_f16_i16_sdwa v129, sext(v129) dst_sel:DWORD dst_unused:UNUSED_PAD src0_sel:BYTE_0
	v_pack_b32_f16 v116, v122, v116
	v_pk_lshrrev_b16 v122, 8, v138 op_sel:[1,0] op_sel_hi:[0,0]
	v_pk_lshrrev_b16 v138, 8, v138 op_sel:[1,1] op_sel_hi:[0,1]
	v_cvt_f16_i16_sdwa v128, sext(v128) dst_sel:DWORD dst_unused:UNUSED_PAD src0_sel:BYTE_0
	v_cvt_f16_i16_sdwa v126, sext(v126) dst_sel:DWORD dst_unused:UNUSED_PAD src0_sel:BYTE_0
	v_pack_b32_f16 v118, v118, v129
	v_lshrrev_b32_e32 v129, 16, v122
	v_cvt_f16_i16_sdwa v122, sext(v122) dst_sel:DWORD dst_unused:UNUSED_PAD src0_sel:BYTE_0
	v_pk_mul_f16 v124, v124, v117
	v_pack_b32_f16 v126, v128, v126
	v_lshrrev_b32_e32 v128, 16, v138
	v_cvt_f16_i16_sdwa v129, sext(v129) dst_sel:DWORD dst_unused:UNUSED_PAD src0_sel:BYTE_0
	v_cvt_f16_i16_sdwa v138, sext(v138) dst_sel:DWORD dst_unused:UNUSED_PAD src0_sel:BYTE_0
	v_pk_mul_f16 v116, v116, v117
	v_pk_lshrrev_b16 v117, 8, v139 op_sel:[1,0] op_sel_hi:[0,0]
	v_cvt_f16_i16_sdwa v128, sext(v128) dst_sel:DWORD dst_unused:UNUSED_PAD src0_sel:BYTE_0
	v_pack_b32_f16 v122, v122, v129
	v_pk_lshrrev_b16 v129, 8, v136 op_sel:[1,0] op_sel_hi:[0,0]
	v_pk_lshrrev_b16 v136, 8, v136 op_sel:[1,1] op_sel_hi:[0,1]
	v_pk_mul_f16 v118, v118, v119
	v_pack_b32_f16 v128, v138, v128
	v_pk_mul_f16 v119, v126, v119
	v_lshrrev_b32_e32 v138, 16, v129
	v_cvt_f16_i16_sdwa v129, sext(v129) dst_sel:DWORD dst_unused:UNUSED_PAD src0_sel:BYTE_0
	v_lshrrev_b32_e32 v126, 16, v136
	v_pk_fma_f16 v115, v124, v114, v115
	v_pk_fma_f16 v113, v116, v114, v113
	v_cvt_f16_i16_sdwa v138, sext(v138) dst_sel:DWORD dst_unused:UNUSED_PAD src0_sel:BYTE_0
	v_pk_lshrrev_b16 v139, 8, v139 op_sel:[1,1] op_sel_hi:[0,1]
	v_cvt_f16_i16_sdwa v136, sext(v136) dst_sel:DWORD dst_unused:UNUSED_PAD src0_sel:BYTE_0
	v_pk_mul_f16 v116, v122, v120
	v_pk_fma_f16 v115, v118, v131, v115
	v_pack_b32_f16 v114, v129, v138
	v_pk_fma_f16 v113, v119, v131, v113
	v_lshrrev_b32_e32 v118, 16, v117
	v_cvt_f16_i16_sdwa v119, sext(v126) dst_sel:DWORD dst_unused:UNUSED_PAD src0_sel:BYTE_0
	s_waitcnt lgkmcnt(1)
	v_mul_u32_u24_e32 v134, 0x10001, v134
	v_pk_mul_f16 v120, v128, v120
	v_pk_mul_f16 v114, v114, v135
	v_pk_fma_f16 v115, v116, v121, v115
	v_lshrrev_b32_e32 v116, 16, v139
	v_pack_b32_f16 v119, v136, v119
	v_cvt_f16_i16_sdwa v117, sext(v117) dst_sel:DWORD dst_unused:UNUSED_PAD src0_sel:BYTE_0
	v_cvt_f16_i16_sdwa v118, sext(v118) dst_sel:DWORD dst_unused:UNUSED_PAD src0_sel:BYTE_0
	v_pk_fma_f16 v113, v120, v121, v113
	v_cvt_f16_i16_sdwa v120, sext(v139) dst_sel:DWORD dst_unused:UNUSED_PAD src0_sel:BYTE_0
	v_cvt_f16_i16_sdwa v116, sext(v116) dst_sel:DWORD dst_unused:UNUSED_PAD src0_sel:BYTE_0
	v_pk_mul_f16 v119, v119, v135
	v_pk_fma_f16 v114, v114, v134, v115
	v_mul_u32_u24_e32 v115, 0x10001, v132
	v_pack_b32_f16 v117, v117, v118
	v_pack_b32_f16 v116, v120, v116
	v_pk_fma_f16 v113, v119, v134, v113
	s_waitcnt lgkmcnt(0)
	v_mul_u32_u24_e32 v118, 0x10001, v130
	v_pk_lshrrev_b16 v119, 8, v127 op_sel:[1,0] op_sel_hi:[0,0]
	v_pk_mul_f16 v117, v117, v115
	v_pk_mul_f16 v115, v116, v115
	s_waitcnt vmcnt(4)
	v_pk_lshrrev_b16 v122, 8, v137 op_sel:[1,0] op_sel_hi:[0,0]
	ds_read_u16 v116, v29 offset:52
	ds_read_u16 v120, v29 offset:56
	v_lshrrev_b32_e32 v121, 16, v119
	v_pk_fma_f16 v114, v117, v118, v114
	v_pk_lshrrev_b16 v117, 8, v127 op_sel:[1,1] op_sel_hi:[0,1]
	v_pk_fma_f16 v113, v115, v118, v113
	v_cvt_f16_i16_sdwa v115, sext(v119) dst_sel:DWORD dst_unused:UNUSED_PAD src0_sel:BYTE_0
	v_cvt_f16_i16_sdwa v118, sext(v121) dst_sel:DWORD dst_unused:UNUSED_PAD src0_sel:BYTE_0
	v_mul_u32_u24_e32 v121, 0x10001, v125
	v_lshrrev_b32_e32 v124, 16, v117
	v_cvt_f16_i16_sdwa v117, sext(v117) dst_sel:DWORD dst_unused:UNUSED_PAD src0_sel:BYTE_0
	v_lshrrev_b32_e32 v125, 16, v122
	v_pack_b32_f16 v115, v115, v118
	v_pk_lshrrev_b16 v118, 8, v137 op_sel:[1,1] op_sel_hi:[0,1]
	v_cvt_f16_i16_sdwa v124, sext(v124) dst_sel:DWORD dst_unused:UNUSED_PAD src0_sel:BYTE_0
	v_cvt_f16_i16_sdwa v122, sext(v122) dst_sel:DWORD dst_unused:UNUSED_PAD src0_sel:BYTE_0
	;; [unrolled: 1-line block ×3, first 2 shown]
	v_mul_u32_u24_e32 v119, 0x10001, v133
	v_lshrrev_b32_e32 v126, 16, v118
	v_pack_b32_f16 v117, v117, v124
	v_pk_mul_f16 v115, v115, v121
	v_cvt_f16_i16_sdwa v118, sext(v118) dst_sel:DWORD dst_unused:UNUSED_PAD src0_sel:BYTE_0
	v_pack_b32_f16 v122, v122, v125
	v_cvt_f16_i16_sdwa v124, sext(v126) dst_sel:DWORD dst_unused:UNUSED_PAD src0_sel:BYTE_0
	v_pk_mul_f16 v117, v117, v121
	v_add_co_u32 v64, vcc_lo, v64, s39
	v_add_co_ci_u32_e64 v65, null, 0, v65, vcc_lo
	v_add_co_u32 v66, vcc_lo, v66, s39
	v_pk_fma_f16 v114, v115, v119, v114
	v_pack_b32_f16 v115, v118, v124
	s_waitcnt lgkmcnt(1)
	v_mul_u32_u24_e32 v116, 0x10001, v116
	v_pk_mul_f16 v118, v122, v123
	v_pk_fma_f16 v113, v117, v119, v113
	s_waitcnt vmcnt(2)
	v_pk_lshrrev_b16 v117, 8, v112 op_sel:[1,0] op_sel_hi:[0,0]
	v_add_co_ci_u32_e64 v67, null, 0, v67, vcc_lo
	v_add_co_u32 v68, vcc_lo, v68, s39
	v_add_co_ci_u32_e64 v69, null, 0, v69, vcc_lo
	v_add_co_u32 v70, vcc_lo, v70, s39
	v_pk_mul_f16 v115, v115, v123
	v_pk_fma_f16 v114, v118, v116, v114
	v_pk_lshrrev_b16 v112, 8, v112 op_sel:[1,1] op_sel_hi:[0,1]
	v_lshrrev_b32_e32 v118, 16, v117
	v_add_co_ci_u32_e64 v71, null, 0, v71, vcc_lo
	v_add_co_u32 v72, vcc_lo, v72, s39
	v_add_co_ci_u32_e64 v73, null, 0, v73, vcc_lo
	v_add_co_u32 v74, vcc_lo, v74, s39
	;; [unrolled: 2-line block ×3, first 2 shown]
	ds_read_u16 v119, v29 offset:60
	v_pk_fma_f16 v113, v115, v116, v113
	s_waitcnt lgkmcnt(1)
	v_mul_u32_u24_e32 v115, 0x10001, v120
	v_cvt_f16_i16_sdwa v116, sext(v117) dst_sel:DWORD dst_unused:UNUSED_PAD src0_sel:BYTE_0
	v_lshrrev_b32_e32 v117, 16, v112
	v_cvt_f16_i16_sdwa v118, sext(v118) dst_sel:DWORD dst_unused:UNUSED_PAD src0_sel:BYTE_0
	s_waitcnt vmcnt(1)
	v_pk_lshrrev_b16 v120, 8, v106 op_sel:[1,0] op_sel_hi:[0,0]
	v_pk_lshrrev_b16 v106, 8, v106 op_sel:[1,1] op_sel_hi:[0,1]
	v_add_co_ci_u32_e64 v77, null, 0, v77, vcc_lo
	v_add_co_u32 v78, vcc_lo, v78, s39
	v_add_co_ci_u32_e64 v79, null, 0, v79, vcc_lo
	v_add_co_u32 v80, vcc_lo, v80, s39
	v_cvt_f16_i16_sdwa v112, sext(v112) dst_sel:DWORD dst_unused:UNUSED_PAD src0_sel:BYTE_0
	v_cvt_f16_i16_sdwa v117, sext(v117) dst_sel:DWORD dst_unused:UNUSED_PAD src0_sel:BYTE_0
	v_lshrrev_b32_e32 v121, 16, v120
	v_pack_b32_f16 v116, v116, v118
	v_lshrrev_b32_e32 v118, 16, v106
	v_add_co_ci_u32_e64 v81, null, 0, v81, vcc_lo
	v_add_co_u32 v82, vcc_lo, v82, s39
	v_add_co_ci_u32_e64 v83, null, 0, v83, vcc_lo
	v_add_co_u32 v84, vcc_lo, v84, s39
	;; [unrolled: 2-line block ×3, first 2 shown]
	v_mul_u32_u24_e32 v111, 0x10001, v111
	v_pack_b32_f16 v112, v112, v117
	v_cvt_f16_i16_sdwa v117, sext(v120) dst_sel:DWORD dst_unused:UNUSED_PAD src0_sel:BYTE_0
	v_cvt_f16_i16_sdwa v120, sext(v121) dst_sel:DWORD dst_unused:UNUSED_PAD src0_sel:BYTE_0
	;; [unrolled: 1-line block ×4, first 2 shown]
	v_add_co_ci_u32_e64 v87, null, 0, v87, vcc_lo
	v_add_co_u32 v88, vcc_lo, v88, s39
	v_add_co_ci_u32_e64 v89, null, 0, v89, vcc_lo
	v_add_co_u32 v90, vcc_lo, v90, s39
	v_pk_mul_f16 v116, v116, v111
	v_pk_mul_f16 v111, v112, v111
	s_waitcnt vmcnt(0)
	v_mul_u32_u24_e32 v107, 0x10001, v107
	v_pack_b32_f16 v112, v117, v120
	v_pack_b32_f16 v106, v106, v118
	v_add_co_ci_u32_e64 v91, null, 0, v91, vcc_lo
	v_add_co_u32 v92, vcc_lo, v92, s39
	v_add_co_ci_u32_e64 v93, null, 0, v93, vcc_lo
	v_add_co_u32 v94, vcc_lo, v94, s39
	;; [unrolled: 2-line block ×3, first 2 shown]
	v_pk_fma_f16 v114, v116, v115, v114
	v_pk_fma_f16 v111, v111, v115, v113
	s_waitcnt lgkmcnt(0)
	v_mul_u32_u24_e32 v113, 0x10001, v119
	v_pk_mul_f16 v112, v112, v107
	v_pk_mul_f16 v106, v106, v107
	v_add_co_ci_u32_e64 v97, null, 0, v97, vcc_lo
	v_add_co_u32 v98, vcc_lo, v98, s39
	v_add_co_ci_u32_e64 v99, null, 0, v99, vcc_lo
	v_add_co_u32 v100, vcc_lo, v100, s39
	v_pk_fma_f16 v107, v112, v113, v114
	v_pk_fma_f16 v106, v106, v113, v111
	v_add_co_ci_u32_e64 v101, null, 0, v101, vcc_lo
	s_cbranch_scc1 .LBB0_26
; %bb.24:                               ;   in Loop: Header=BB0_19 Depth=1
	v_mov_b32_e32 v108, v109
	s_branch .LBB0_19
.LBB0_25:
	v_mov_b32_e32 v107, 0
	v_mov_b32_e32 v109, 0xfeffffff
	;; [unrolled: 1-line block ×3, first 2 shown]
.LBB0_26:
	v_or_b32_e32 v2, s7, v1
	s_cmp_lg_u64 s[20:21], 0
	s_cselect_b32 s1, -1, 0
	v_cmp_eq_u32_e32 vcc_lo, 0, v2
	s_and_b32 s2, vcc_lo, s1
	s_and_saveexec_b32 s1, s2
	s_cbranch_execz .LBB0_28
; %bb.27:
	s_lshl_b64 s[2:3], s[30:31], 2
	v_max_f32_e32 v2, v109, v109
	s_add_u32 s2, s20, s2
	s_addc_u32 s3, s21, s3
	s_load_dword s2, s[2:3], 0x0
	s_waitcnt lgkmcnt(0)
	v_max_f32_e64 v3, s2, s2
	v_max_f32_e32 v2, v2, v3
	v_sub_f32_e32 v3, v109, v2
	v_sub_f32_e32 v4, s2, v2
	v_mov_b32_e32 v109, v2
	v_mul_f32_e32 v5, 0x3fb8aa3b, v3
	v_mul_f32_e32 v6, 0x3fb8aa3b, v4
	v_cmp_ngt_f32_e32 vcc_lo, 0xc2ce8ed0, v3
	v_fma_f32 v7, 0x3fb8aa3b, v3, -v5
	v_rndne_f32_e32 v8, v5
	v_fma_f32 v9, 0x3fb8aa3b, v4, -v6
	v_rndne_f32_e32 v10, v6
	v_fmac_f32_e32 v7, 0x32a5705f, v3
	v_sub_f32_e32 v5, v5, v8
	v_fmac_f32_e32 v9, 0x32a5705f, v4
	v_sub_f32_e32 v6, v6, v10
	v_add_f32_e32 v5, v5, v7
	v_cvt_i32_f32_e32 v7, v8
	v_add_f32_e32 v6, v6, v9
	v_cvt_i32_f32_e32 v8, v10
	v_exp_f32_e32 v5, v5
	v_exp_f32_e32 v6, v6
	v_ldexp_f32 v5, v5, v7
	v_ldexp_f32 v6, v6, v8
	v_cndmask_b32_e32 v5, 0, v5, vcc_lo
	v_cmp_ngt_f32_e32 vcc_lo, 0xc2ce8ed0, v4
	v_cndmask_b32_e32 v6, 0, v6, vcc_lo
	v_cmp_nlt_f32_e32 vcc_lo, 0x42b17218, v3
	v_cndmask_b32_e32 v3, 0x7f800000, v5, vcc_lo
	v_cmp_nlt_f32_e32 vcc_lo, 0x42b17218, v4
	v_mov_b32_e32 v5, 0x10001
	v_cndmask_b32_e32 v4, 0x7f800000, v6, vcc_lo
	v_cmp_eq_u32_e32 vcc_lo, 0, v0
	v_cvt_f16_f32_e32 v6, v3
	v_cndmask_b32_e32 v4, 0, v4, vcc_lo
	v_mul_u32_u24_sdwa v5, v6, v5 dst_sel:DWORD dst_unused:UNUSED_PAD src0_sel:WORD_0 src1_sel:DWORD
	v_fmac_f32_e32 v4, v22, v3
	v_pk_mul_f16 v107, v107, v5
	v_pk_mul_f16 v106, v106, v5
	v_mov_b32_e32 v22, v4
.LBB0_28:
	s_or_b32 exec_lo, exec_lo, s1
	s_and_saveexec_b32 s1, s0
	s_cbranch_execz .LBB0_30
; %bb.29:
	v_mov_b32_e32 v2, 0xfeffffff
	v_mov_b32_e32 v3, 0
	v_add_nc_u32_e32 v4, 0x400, v19
	ds_write2_b32 v4, v2, v3 offset1:32
.LBB0_30:
	s_or_b32 exec_lo, exec_lo, s1
	v_cmp_eq_u32_e32 vcc_lo, 0, v0
	v_lshlrev_b32_e32 v5, 2, v1
	s_waitcnt lgkmcnt(0)
	s_barrier
	buffer_gl0_inv
	s_and_saveexec_b32 s0, vcc_lo
; %bb.31:
	ds_write_b32 v5, v109 offset:1024
; %bb.32:
	s_or_b32 exec_lo, exec_lo, s0
	s_waitcnt lgkmcnt(0)
	s_barrier
	buffer_gl0_inv
	ds_read_b32 v2, v19 offset:1024
	v_xor_b32_e32 v3, 16, v20
	v_xor_b32_e32 v4, 8, v20
	v_lshlrev_b32_e32 v0, 3, v0
	v_mov_b32_e32 v13, 0x10001
	v_cmp_gt_i32_e64 s0, 32, v3
	v_cndmask_b32_e64 v3, v20, v3, s0
	v_cmp_gt_i32_e64 s0, 32, v4
	v_lshlrev_b32_e32 v7, 2, v3
	v_cndmask_b32_e64 v4, v20, v4, s0
	s_waitcnt lgkmcnt(0)
	ds_bpermute_b32 v3, v7, v2
	v_max_f32_e32 v2, v2, v2
	v_lshlrev_b32_e32 v8, 2, v4
	v_xor_b32_e32 v4, 4, v20
	v_cmp_gt_i32_e64 s0, 32, v4
	v_cndmask_b32_e64 v4, v20, v4, s0
	v_lshlrev_b32_e32 v9, 2, v4
	v_xor_b32_e32 v4, 2, v20
	s_waitcnt lgkmcnt(0)
	v_max_f32_e32 v3, v3, v3
	v_cmp_gt_i32_e64 s0, 32, v4
	v_max_f32_e32 v2, v2, v3
	v_cndmask_b32_e64 v4, v20, v4, s0
	ds_bpermute_b32 v3, v8, v2
	v_lshlrev_b32_e32 v6, 2, v4
	v_xor_b32_e32 v4, 1, v20
	v_cmp_gt_i32_e64 s0, 32, v4
	v_cndmask_b32_e64 v4, v20, v4, s0
	s_waitcnt lgkmcnt(0)
	v_max_f32_e32 v3, v3, v3
	v_lshlrev_b32_e32 v4, 2, v4
	v_max_f32_e32 v2, v2, v3
	ds_bpermute_b32 v3, v9, v2
	s_waitcnt lgkmcnt(0)
	v_max_f32_e32 v3, v3, v3
	v_max_f32_e32 v2, v2, v3
	ds_bpermute_b32 v3, v6, v2
	s_waitcnt lgkmcnt(0)
	v_max_f32_e32 v3, v3, v3
	;; [unrolled: 4-line block ×3, first 2 shown]
	v_max_f32_e32 v2, v2, v3
	v_sub_f32_e32 v3, v109, v2
	v_mul_f32_e32 v10, 0x3fb8aa3b, v3
	v_cmp_ngt_f32_e64 s0, 0xc2ce8ed0, v3
	v_fma_f32 v11, 0x3fb8aa3b, v3, -v10
	v_rndne_f32_e32 v12, v10
	v_fmamk_f32 v11, v3, 0x32a5705f, v11
	v_sub_f32_e32 v10, v10, v12
	v_add_f32_e32 v10, v10, v11
	v_cvt_i32_f32_e32 v11, v12
	v_and_b32_e32 v12, 0x380, v0
	v_exp_f32_e32 v10, v10
	v_lshl_add_u32 v1, v1, 8, v12
	v_and_or_b32 v12, 0x78, v0, v1
	v_ldexp_f32 v10, v10, v11
	v_cndmask_b32_e64 v10, 0, v10, s0
	v_cmp_nlt_f32_e64 s0, 0x42b17218, v3
	v_cndmask_b32_e64 v3, 0x7f800000, v10, s0
	v_mul_f32_e32 v10, v22, v3
	ds_bpermute_b32 v10, v7, v10
	s_waitcnt lgkmcnt(0)
	v_fmac_f32_e32 v10, v22, v3
	v_cvt_f16_f32_e32 v3, v3
	ds_bpermute_b32 v11, v8, v10
	v_mul_u32_u24_sdwa v3, v3, v13 dst_sel:DWORD dst_unused:UNUSED_PAD src0_sel:WORD_0 src1_sel:DWORD
	v_pk_mul_f16 v0, v107, v3
	v_pk_mul_f16 v1, v106, v3
	ds_write_b64 v12, v[0:1]
	s_waitcnt lgkmcnt(1)
	v_add_f32_e32 v10, v10, v11
	ds_bpermute_b32 v11, v9, v10
	s_waitcnt lgkmcnt(0)
	v_add_f32_e32 v10, v10, v11
	ds_bpermute_b32 v11, v6, v10
	;; [unrolled: 3-line block ×3, first 2 shown]
	s_waitcnt lgkmcnt(0)
	v_add_f32_e32 v3, v10, v11
	s_and_saveexec_b32 s0, vcc_lo
; %bb.33:
	ds_write_b32 v5, v3 offset:1152
; %bb.34:
	s_or_b32 exec_lo, exec_lo, s0
	s_waitcnt lgkmcnt(0)
	s_barrier
	buffer_gl0_inv
	s_load_dword s1, s[4:5], 0xd4
	s_mul_i32 s0, s33, s28
	s_mov_b32 s2, exec_lo
	s_add_i32 s0, s0, s6
	s_mul_i32 s0, s0, s29
	s_add_i32 s0, s0, s30
	s_waitcnt lgkmcnt(0)
	s_mul_i32 s0, s1, s0
	v_cmpx_gt_u32_e32 64, v17
	s_cbranch_execz .LBB0_36
; %bb.35:
	ds_read_b32 v0, v19 offset:1152
	s_add_i32 s3, s0, s7
	s_cmp_eq_u32 s1, 1
	s_waitcnt lgkmcnt(0)
	ds_bpermute_b32 v1, v7, v0
	ds_read_u16 v3, v18
	ds_read_u16 v5, v18 offset:128
	ds_read_u16 v7, v18 offset:256
	s_waitcnt lgkmcnt(2)
	v_cvt_f32_f16_e32 v3, v3
	v_add_f32_e32 v0, v0, v1
	s_waitcnt lgkmcnt(1)
	v_cvt_f32_f16_e32 v5, v5
	s_waitcnt lgkmcnt(0)
	v_cvt_f32_f16_e32 v7, v7
	v_add_f32_e32 v3, 0, v3
	ds_bpermute_b32 v1, v8, v0
	v_add_f32_e32 v3, v3, v5
	v_add_f32_e32 v3, v3, v7
	s_waitcnt lgkmcnt(0)
	v_add_f32_e32 v0, v0, v1
	ds_bpermute_b32 v1, v9, v0
	s_waitcnt lgkmcnt(0)
	v_add_f32_e32 v0, v0, v1
	ds_read_u16 v1, v18 offset:384
	ds_read_u16 v8, v18 offset:512
	;; [unrolled: 1-line block ×5, first 2 shown]
	ds_bpermute_b32 v6, v6, v0
	s_waitcnt lgkmcnt(4)
	v_cvt_f32_f16_e32 v5, v8
	v_cvt_f32_f16_e32 v1, v1
	s_waitcnt lgkmcnt(0)
	v_add_f32_e32 v0, v0, v6
	v_add_f32_e32 v1, v3, v1
	ds_bpermute_b32 v3, v4, v0
	v_cvt_f32_f16_e32 v4, v9
	v_add_f32_e32 v1, v1, v5
	v_cvt_f32_f16_e32 v5, v10
	v_add_f32_e32 v1, v1, v4
	;; [unrolled: 2-line block ×3, first 2 shown]
	v_add_f32_e32 v4, v1, v4
	s_waitcnt lgkmcnt(0)
	v_add_f32_e32 v3, v0, v3
	v_div_scale_f32 v0, null, v3, v3, v4
	v_div_scale_f32 v6, vcc_lo, v4, v3, v4
	v_rcp_f32_e32 v5, v0
	v_fma_f32 v1, -v0, v5, 1.0
	v_fmac_f32_e32 v5, v1, v5
	v_mul_f32_e32 v7, v6, v5
	v_fma_f32 v1, -v0, v7, v6
	v_fmac_f32_e32 v7, v1, v5
	v_mov_b32_e32 v1, 0
	v_fma_f32 v6, -v0, v7, v6
	v_lshl_or_b32 v0, s3, 6, v17
	v_div_fmas_f32 v5, v6, v5, v7
	v_lshlrev_b64 v[0:1], 2, v[0:1]
	v_div_fixup_f32 v5, v5, v3, v4
	v_add_co_u32 v0, vcc_lo, s24, v0
	v_add_co_ci_u32_e64 v1, null, s25, v1, vcc_lo
	s_cselect_b32 vcc_lo, -1, 0
	v_cndmask_b32_e32 v4, v4, v5, vcc_lo
	global_store_dword v[0:1], v4, off
.LBB0_36:
	s_or_b32 exec_lo, exec_lo, s2
	v_cmp_eq_u32_e32 vcc_lo, 0, v17
	s_cmp_lg_u32 s1, 1
	s_mov_b32 s1, 0
	s_cselect_b32 s2, -1, 0
	s_and_b32 s2, vcc_lo, s2
	s_and_saveexec_b32 s3, s2
	s_cbranch_execz .LBB0_38
; %bb.37:
	s_add_i32 s0, s0, s7
	v_mov_b32_e32 v0, 0
	s_lshl_b64 s[0:1], s[0:1], 3
	s_add_u32 s0, s26, s0
	s_addc_u32 s1, s27, s1
	global_store_dwordx2 v0, v[2:3], s[0:1]
.LBB0_38:
	s_endpgm
	.section	.rodata,"a",@progbits
	.p2align	6, 0x0
	.amdhsa_kernel _ZL18flash_attn_ext_vecILi64ELi1EL9ggml_type7ELS0_8ELb0EEvPKcS2_S2_S2_S2_PKiPfP15HIP_vector_typeIfLj2EEffffjfiS6_IjLj3EEiiiiiiiiiiiliiliiiiil
		.amdhsa_group_segment_fixed_size 1280
		.amdhsa_private_segment_fixed_size 0
		.amdhsa_kernarg_size 464
		.amdhsa_user_sgpr_count 6
		.amdhsa_user_sgpr_private_segment_buffer 1
		.amdhsa_user_sgpr_dispatch_ptr 0
		.amdhsa_user_sgpr_queue_ptr 0
		.amdhsa_user_sgpr_kernarg_segment_ptr 1
		.amdhsa_user_sgpr_dispatch_id 0
		.amdhsa_user_sgpr_flat_scratch_init 0
		.amdhsa_user_sgpr_private_segment_size 0
		.amdhsa_wavefront_size32 1
		.amdhsa_uses_dynamic_stack 0
		.amdhsa_system_sgpr_private_segment_wavefront_offset 0
		.amdhsa_system_sgpr_workgroup_id_x 1
		.amdhsa_system_sgpr_workgroup_id_y 1
		.amdhsa_system_sgpr_workgroup_id_z 1
		.amdhsa_system_sgpr_workgroup_info 0
		.amdhsa_system_vgpr_workitem_id 1
		.amdhsa_next_free_vgpr 151
		.amdhsa_next_free_sgpr 49
		.amdhsa_reserve_vcc 1
		.amdhsa_reserve_flat_scratch 0
		.amdhsa_float_round_mode_32 0
		.amdhsa_float_round_mode_16_64 0
		.amdhsa_float_denorm_mode_32 3
		.amdhsa_float_denorm_mode_16_64 3
		.amdhsa_dx10_clamp 1
		.amdhsa_ieee_mode 1
		.amdhsa_fp16_overflow 0
		.amdhsa_workgroup_processor_mode 1
		.amdhsa_memory_ordered 1
		.amdhsa_forward_progress 1
		.amdhsa_shared_vgpr_count 0
		.amdhsa_exception_fp_ieee_invalid_op 0
		.amdhsa_exception_fp_denorm_src 0
		.amdhsa_exception_fp_ieee_div_zero 0
		.amdhsa_exception_fp_ieee_overflow 0
		.amdhsa_exception_fp_ieee_underflow 0
		.amdhsa_exception_fp_ieee_inexact 0
		.amdhsa_exception_int_div_zero 0
	.end_amdhsa_kernel
	.section	.text._ZL18flash_attn_ext_vecILi64ELi1EL9ggml_type7ELS0_8ELb0EEvPKcS2_S2_S2_S2_PKiPfP15HIP_vector_typeIfLj2EEffffjfiS6_IjLj3EEiiiiiiiiiiiliiliiiiil,"axG",@progbits,_ZL18flash_attn_ext_vecILi64ELi1EL9ggml_type7ELS0_8ELb0EEvPKcS2_S2_S2_S2_PKiPfP15HIP_vector_typeIfLj2EEffffjfiS6_IjLj3EEiiiiiiiiiiiliiliiiiil,comdat
.Lfunc_end0:
	.size	_ZL18flash_attn_ext_vecILi64ELi1EL9ggml_type7ELS0_8ELb0EEvPKcS2_S2_S2_S2_PKiPfP15HIP_vector_typeIfLj2EEffffjfiS6_IjLj3EEiiiiiiiiiiiliiliiiiil, .Lfunc_end0-_ZL18flash_attn_ext_vecILi64ELi1EL9ggml_type7ELS0_8ELb0EEvPKcS2_S2_S2_S2_PKiPfP15HIP_vector_typeIfLj2EEffffjfiS6_IjLj3EEiiiiiiiiiiiliiliiiiil
                                        ; -- End function
	.set _ZL18flash_attn_ext_vecILi64ELi1EL9ggml_type7ELS0_8ELb0EEvPKcS2_S2_S2_S2_PKiPfP15HIP_vector_typeIfLj2EEffffjfiS6_IjLj3EEiiiiiiiiiiiliiliiiiil.num_vgpr, 151
	.set _ZL18flash_attn_ext_vecILi64ELi1EL9ggml_type7ELS0_8ELb0EEvPKcS2_S2_S2_S2_PKiPfP15HIP_vector_typeIfLj2EEffffjfiS6_IjLj3EEiiiiiiiiiiiliiliiiiil.num_agpr, 0
	.set _ZL18flash_attn_ext_vecILi64ELi1EL9ggml_type7ELS0_8ELb0EEvPKcS2_S2_S2_S2_PKiPfP15HIP_vector_typeIfLj2EEffffjfiS6_IjLj3EEiiiiiiiiiiiliiliiiiil.numbered_sgpr, 49
	.set _ZL18flash_attn_ext_vecILi64ELi1EL9ggml_type7ELS0_8ELb0EEvPKcS2_S2_S2_S2_PKiPfP15HIP_vector_typeIfLj2EEffffjfiS6_IjLj3EEiiiiiiiiiiiliiliiiiil.num_named_barrier, 0
	.set _ZL18flash_attn_ext_vecILi64ELi1EL9ggml_type7ELS0_8ELb0EEvPKcS2_S2_S2_S2_PKiPfP15HIP_vector_typeIfLj2EEffffjfiS6_IjLj3EEiiiiiiiiiiiliiliiiiil.private_seg_size, 0
	.set _ZL18flash_attn_ext_vecILi64ELi1EL9ggml_type7ELS0_8ELb0EEvPKcS2_S2_S2_S2_PKiPfP15HIP_vector_typeIfLj2EEffffjfiS6_IjLj3EEiiiiiiiiiiiliiliiiiil.uses_vcc, 1
	.set _ZL18flash_attn_ext_vecILi64ELi1EL9ggml_type7ELS0_8ELb0EEvPKcS2_S2_S2_S2_PKiPfP15HIP_vector_typeIfLj2EEffffjfiS6_IjLj3EEiiiiiiiiiiiliiliiiiil.uses_flat_scratch, 0
	.set _ZL18flash_attn_ext_vecILi64ELi1EL9ggml_type7ELS0_8ELb0EEvPKcS2_S2_S2_S2_PKiPfP15HIP_vector_typeIfLj2EEffffjfiS6_IjLj3EEiiiiiiiiiiiliiliiiiil.has_dyn_sized_stack, 0
	.set _ZL18flash_attn_ext_vecILi64ELi1EL9ggml_type7ELS0_8ELb0EEvPKcS2_S2_S2_S2_PKiPfP15HIP_vector_typeIfLj2EEffffjfiS6_IjLj3EEiiiiiiiiiiiliiliiiiil.has_recursion, 0
	.set _ZL18flash_attn_ext_vecILi64ELi1EL9ggml_type7ELS0_8ELb0EEvPKcS2_S2_S2_S2_PKiPfP15HIP_vector_typeIfLj2EEffffjfiS6_IjLj3EEiiiiiiiiiiiliiliiiiil.has_indirect_call, 0
	.section	.AMDGPU.csdata,"",@progbits
; Kernel info:
; codeLenInByte = 11928
; TotalNumSgprs: 51
; NumVgprs: 151
; ScratchSize: 0
; MemoryBound: 0
; FloatMode: 240
; IeeeMode: 1
; LDSByteSize: 1280 bytes/workgroup (compile time only)
; SGPRBlocks: 0
; VGPRBlocks: 18
; NumSGPRsForWavesPerEU: 51
; NumVGPRsForWavesPerEU: 151
; Occupancy: 6
; WaveLimiterHint : 0
; COMPUTE_PGM_RSRC2:SCRATCH_EN: 0
; COMPUTE_PGM_RSRC2:USER_SGPR: 6
; COMPUTE_PGM_RSRC2:TRAP_HANDLER: 0
; COMPUTE_PGM_RSRC2:TGID_X_EN: 1
; COMPUTE_PGM_RSRC2:TGID_Y_EN: 1
; COMPUTE_PGM_RSRC2:TGID_Z_EN: 1
; COMPUTE_PGM_RSRC2:TIDIG_COMP_CNT: 1
	.section	.text._ZL25flash_attn_mask_to_KV_maxILi1EEvPK7__half2Piiii,"axG",@progbits,_ZL25flash_attn_mask_to_KV_maxILi1EEvPK7__half2Piiii,comdat
	.globl	_ZL25flash_attn_mask_to_KV_maxILi1EEvPK7__half2Piiii ; -- Begin function _ZL25flash_attn_mask_to_KV_maxILi1EEvPK7__half2Piiii
	.p2align	8
	.type	_ZL25flash_attn_mask_to_KV_maxILi1EEvPK7__half2Piiii,@function
_ZL25flash_attn_mask_to_KV_maxILi1EEvPK7__half2Piiii: ; @_ZL25flash_attn_mask_to_KV_maxILi1EEvPK7__half2Piiii
; %bb.0:
	s_load_dwordx4 s[8:11], s[4:5], 0x0
	s_mov_b32 s0, exec_lo
	v_cmpx_gt_u32_e32 32, v0
; %bb.1:
	v_lshlrev_b32_e32 v1, 2, v0
	v_mov_b32_e32 v2, 1
	ds_write_b32 v1, v2
; %bb.2:
	s_or_b32 exec_lo, exec_lo, s0
	s_clause 0x1
	s_load_dwordx4 s[12:15], s[4:5], 0x10
	s_load_dword s1, s[4:5], 0x20
	v_and_b32_e32 v1, 31, v0
	v_lshrrev_b32_e32 v3, 3, v0
	v_mov_b32_e32 v2, 0
	v_mov_b32_e32 v4, 0x204
	s_waitcnt lgkmcnt(0)
	v_lshlrev_b32_e32 v5, 2, v1
	s_barrier
	buffer_gl0_inv
	s_mul_i32 s0, s14, s7
	s_mul_i32 s2, s13, s6
	s_add_i32 s2, s0, s2
	v_cmp_eq_u32_e64 s0, 0, v1
	s_ashr_i32 s3, s2, 31
	s_lshl_b64 s[4:5], s[2:3], 2
	s_add_u32 s3, s8, s4
	s_addc_u32 s4, s9, s5
	s_lshl_b32 s5, s12, 8
	s_branch .LBB1_4
	.p2align	6
.LBB1_3:                                ;   in Loop: Header=BB1_4 Depth=1
	s_or_b32 exec_lo, exec_lo, s9
	s_waitcnt lgkmcnt(0)
	s_barrier
	buffer_gl0_inv
	ds_read_b32 v1, v5
	s_waitcnt lgkmcnt(0)
	s_barrier
	buffer_gl0_inv
	v_cmp_ne_u32_e32 vcc_lo, 0, v1
	s_cmp_lg_u32 vcc_lo, exec_lo
	s_cselect_b32 s8, -1, 0
	s_and_b32 vcc_lo, exec_lo, s8
	s_cbranch_vccnz .LBB1_8
.LBB1_4:                                ; =>This Inner Loop Header: Depth=1
	s_mov_b32 s2, s5
	s_addk_i32 s5, 0xff00
	s_cmp_lt_i32 s5, 0
	s_cbranch_scc1 .LBB1_7
; %bb.5:                                ;   in Loop: Header=BB1_4 Depth=1
	s_lshr_b32 s9, s5, 1
	s_mov_b32 s8, exec_lo
	v_add_nc_u32_e32 v1, s9, v0
	v_lshlrev_b64 v[6:7], 2, v[1:2]
	v_add_co_u32 v6, vcc_lo, s3, v6
	v_add_co_ci_u32_e64 v7, null, s4, v7, vcc_lo
	global_load_dword v1, v[6:7], off
	s_waitcnt vmcnt(0)
	v_cmp_class_f16_e64 s9, v1, 0x204
	v_cmp_class_f16_sdwa s12, v1, v4 src0_sel:WORD_1 src1_sel:DWORD
	s_and_b32 s9, s9, s12
	v_cndmask_b32_e64 v1, 0, 1, s9
	v_cmp_ne_u32_e32 vcc_lo, 0, v1
	s_and_saveexec_b32 s9, s0
	s_cbranch_execz .LBB1_3
; %bb.6:                                ;   in Loop: Header=BB1_4 Depth=1
	s_cmp_eq_u32 vcc_lo, s8
	s_cselect_b32 s8, -1, 0
	v_cndmask_b32_e64 v1, 0, 1, s8
	ds_write_b32 v3, v1
	s_branch .LBB1_3
.LBB1_7:                                ;   in Loop: Header=BB1_4 Depth=1
	s_cbranch_execz .LBB1_4
.LBB1_8:
	s_mov_b32 s0, exec_lo
	v_cmpx_eq_u32_e32 0, v0
	s_cbranch_execz .LBB1_10
; %bb.9:
	s_mul_i32 s0, s1, s7
	v_mov_b32_e32 v0, 0
	s_add_i32 s0, s0, s6
	v_mov_b32_e32 v1, s2
	s_ashr_i32 s1, s0, 31
	s_lshl_b64 s[0:1], s[0:1], 2
	s_add_u32 s0, s10, s0
	s_addc_u32 s1, s11, s1
	global_store_dword v0, v1, s[0:1]
.LBB1_10:
	s_endpgm
	.section	.rodata,"a",@progbits
	.p2align	6, 0x0
	.amdhsa_kernel _ZL25flash_attn_mask_to_KV_maxILi1EEvPK7__half2Piiii
		.amdhsa_group_segment_fixed_size 128
		.amdhsa_private_segment_fixed_size 0
		.amdhsa_kernarg_size 288
		.amdhsa_user_sgpr_count 6
		.amdhsa_user_sgpr_private_segment_buffer 1
		.amdhsa_user_sgpr_dispatch_ptr 0
		.amdhsa_user_sgpr_queue_ptr 0
		.amdhsa_user_sgpr_kernarg_segment_ptr 1
		.amdhsa_user_sgpr_dispatch_id 0
		.amdhsa_user_sgpr_flat_scratch_init 0
		.amdhsa_user_sgpr_private_segment_size 0
		.amdhsa_wavefront_size32 1
		.amdhsa_uses_dynamic_stack 0
		.amdhsa_system_sgpr_private_segment_wavefront_offset 0
		.amdhsa_system_sgpr_workgroup_id_x 1
		.amdhsa_system_sgpr_workgroup_id_y 1
		.amdhsa_system_sgpr_workgroup_id_z 0
		.amdhsa_system_sgpr_workgroup_info 0
		.amdhsa_system_vgpr_workitem_id 0
		.amdhsa_next_free_vgpr 8
		.amdhsa_next_free_sgpr 16
		.amdhsa_reserve_vcc 1
		.amdhsa_reserve_flat_scratch 0
		.amdhsa_float_round_mode_32 0
		.amdhsa_float_round_mode_16_64 0
		.amdhsa_float_denorm_mode_32 3
		.amdhsa_float_denorm_mode_16_64 3
		.amdhsa_dx10_clamp 1
		.amdhsa_ieee_mode 1
		.amdhsa_fp16_overflow 0
		.amdhsa_workgroup_processor_mode 1
		.amdhsa_memory_ordered 1
		.amdhsa_forward_progress 1
		.amdhsa_shared_vgpr_count 0
		.amdhsa_exception_fp_ieee_invalid_op 0
		.amdhsa_exception_fp_denorm_src 0
		.amdhsa_exception_fp_ieee_div_zero 0
		.amdhsa_exception_fp_ieee_overflow 0
		.amdhsa_exception_fp_ieee_underflow 0
		.amdhsa_exception_fp_ieee_inexact 0
		.amdhsa_exception_int_div_zero 0
	.end_amdhsa_kernel
	.section	.text._ZL25flash_attn_mask_to_KV_maxILi1EEvPK7__half2Piiii,"axG",@progbits,_ZL25flash_attn_mask_to_KV_maxILi1EEvPK7__half2Piiii,comdat
.Lfunc_end1:
	.size	_ZL25flash_attn_mask_to_KV_maxILi1EEvPK7__half2Piiii, .Lfunc_end1-_ZL25flash_attn_mask_to_KV_maxILi1EEvPK7__half2Piiii
                                        ; -- End function
	.set _ZL25flash_attn_mask_to_KV_maxILi1EEvPK7__half2Piiii.num_vgpr, 8
	.set _ZL25flash_attn_mask_to_KV_maxILi1EEvPK7__half2Piiii.num_agpr, 0
	.set _ZL25flash_attn_mask_to_KV_maxILi1EEvPK7__half2Piiii.numbered_sgpr, 16
	.set _ZL25flash_attn_mask_to_KV_maxILi1EEvPK7__half2Piiii.num_named_barrier, 0
	.set _ZL25flash_attn_mask_to_KV_maxILi1EEvPK7__half2Piiii.private_seg_size, 0
	.set _ZL25flash_attn_mask_to_KV_maxILi1EEvPK7__half2Piiii.uses_vcc, 1
	.set _ZL25flash_attn_mask_to_KV_maxILi1EEvPK7__half2Piiii.uses_flat_scratch, 0
	.set _ZL25flash_attn_mask_to_KV_maxILi1EEvPK7__half2Piiii.has_dyn_sized_stack, 0
	.set _ZL25flash_attn_mask_to_KV_maxILi1EEvPK7__half2Piiii.has_recursion, 0
	.set _ZL25flash_attn_mask_to_KV_maxILi1EEvPK7__half2Piiii.has_indirect_call, 0
	.section	.AMDGPU.csdata,"",@progbits
; Kernel info:
; codeLenInByte = 452
; TotalNumSgprs: 18
; NumVgprs: 8
; ScratchSize: 0
; MemoryBound: 0
; FloatMode: 240
; IeeeMode: 1
; LDSByteSize: 128 bytes/workgroup (compile time only)
; SGPRBlocks: 0
; VGPRBlocks: 0
; NumSGPRsForWavesPerEU: 18
; NumVGPRsForWavesPerEU: 8
; Occupancy: 16
; WaveLimiterHint : 0
; COMPUTE_PGM_RSRC2:SCRATCH_EN: 0
; COMPUTE_PGM_RSRC2:USER_SGPR: 6
; COMPUTE_PGM_RSRC2:TRAP_HANDLER: 0
; COMPUTE_PGM_RSRC2:TGID_X_EN: 1
; COMPUTE_PGM_RSRC2:TGID_Y_EN: 1
; COMPUTE_PGM_RSRC2:TGID_Z_EN: 0
; COMPUTE_PGM_RSRC2:TIDIG_COMP_CNT: 0
	.section	.text._ZL33flash_attn_stream_k_fixup_uniformILi64ELi1ELi1EEvPfPK15HIP_vector_typeIfLj2EEiiiiiiS1_IjLj3EES5_S5_,"axG",@progbits,_ZL33flash_attn_stream_k_fixup_uniformILi64ELi1ELi1EEvPfPK15HIP_vector_typeIfLj2EEiiiiiiS1_IjLj3EES5_S5_,comdat
	.globl	_ZL33flash_attn_stream_k_fixup_uniformILi64ELi1ELi1EEvPfPK15HIP_vector_typeIfLj2EEiiiiiiS1_IjLj3EES5_S5_ ; -- Begin function _ZL33flash_attn_stream_k_fixup_uniformILi64ELi1ELi1EEvPfPK15HIP_vector_typeIfLj2EEiiiiiiS1_IjLj3EES5_S5_
	.p2align	8
	.type	_ZL33flash_attn_stream_k_fixup_uniformILi64ELi1ELi1EEvPfPK15HIP_vector_typeIfLj2EEiiiiiiS1_IjLj3EES5_S5_,@function
_ZL33flash_attn_stream_k_fixup_uniformILi64ELi1ELi1EEvPfPK15HIP_vector_typeIfLj2EEiiiiiiS1_IjLj3EES5_S5_: ; @_ZL33flash_attn_stream_k_fixup_uniformILi64ELi1ELi1EEvPfPK15HIP_vector_typeIfLj2EEiiiiiiS1_IjLj3EES5_S5_
; %bb.0:
	s_clause 0x1
	s_load_dwordx8 s[12:19], s[4:5], 0x1c
	s_load_dwordx4 s[0:3], s[4:5], 0x3c
	s_waitcnt lgkmcnt(0)
	s_mul_hi_u32 s9, s15, s6
	s_add_i32 s9, s6, s9
	s_lshr_b32 s9, s9, s16
	s_mul_i32 s10, s9, s17
	s_sub_i32 s16, s6, s10
	s_load_dwordx2 s[10:11], s[4:5], 0x10
	s_mul_hi_u32 s15, s16, s18
	s_add_i32 s15, s16, s15
	s_lshr_b32 s15, s15, s19
	s_mul_i32 s0, s15, s0
	s_sub_i32 s0, s16, s0
	s_mul_hi_u32 s1, s0, s1
	s_add_i32 s1, s0, s1
	s_lshr_b32 s17, s1, s2
	s_mul_i32 s1, s17, s3
	s_sub_i32 s16, s0, s1
	s_add_i32 s16, s16, s7
	s_waitcnt lgkmcnt(0)
	s_cmp_lt_i32 s16, s10
	s_cselect_b32 s0, -1, 0
	s_add_i32 s17, s17, s8
	s_cmp_lt_i32 s17, s13
	s_cselect_b32 s1, -1, 0
	s_and_b32 s0, s0, s1
	s_andn2_b32 vcc_lo, exec_lo, s0
	s_cbranch_vccnz .LBB2_6
; %bb.1:
	s_mul_i32 s9, s9, s10
	s_load_dwordx4 s[0:3], s[4:5], 0x0
	s_mul_i32 s15, s15, s13
	s_add_i32 s4, s16, s9
	s_add_i32 s5, s17, s15
	s_mul_i32 s4, s4, s11
	s_add_i32 s5, s5, s4
	s_mul_i32 s4, s14, s6
	v_lshl_or_b32 v1, s5, 6, v0
	s_add_i32 s6, s7, s8
	s_add_i32 s5, s4, s14
	;; [unrolled: 1-line block ×3, first 2 shown]
	v_ashrrev_i32_e32 v2, 31, v1
	v_lshlrev_b64 v[1:2], 2, v[1:2]
	s_waitcnt lgkmcnt(0)
	v_add_co_u32 v1, vcc_lo, s0, v1
	v_add_co_ci_u32_e64 v2, null, s1, v2, vcc_lo
	s_add_i32 s0, s7, -1
	s_ashr_i32 s1, s0, 31
	global_load_dword v5, v[1:2], off
	s_lshl_b64 s[0:1], s[0:1], 3
	s_add_u32 s0, s2, s0
	s_addc_u32 s1, s3, s1
	s_add_i32 s9, s5, -2
	s_load_dword s8, s[0:1], 0x4
	s_cmp_lt_i32 s9, s4
	s_cbranch_scc1 .LBB2_4
; %bb.2:
	s_load_dword s9, s[0:1], 0x0
	v_lshl_or_b32 v0, s7, 6, v0
	s_lshl_b32 s0, s12, 2
	s_waitcnt lgkmcnt(0)
	v_mov_b32_e32 v6, s8
	s_ashr_i32 s1, s0, 31
	s_lshl_b64 s[0:1], s[0:1], 2
	v_add_nc_u32_e32 v3, 0xffffff80, v0
	s_add_u32 s0, s2, s0
	s_addc_u32 s1, s3, s1
	s_add_i32 s5, s5, -1
	s_add_i32 s6, s6, s12
	v_mov_b32_e32 v0, s9
.LBB2_3:                                ; =>This Inner Loop Header: Depth=1
	v_ashrrev_i32_e32 v4, 31, v3
	s_add_i32 s5, s5, -1
	s_add_i32 s8, s5, s6
	s_ashr_i32 s9, s8, 31
	v_lshlrev_b64 v[7:8], 2, v[3:4]
	s_lshl_b64 s[8:9], s[8:9], 3
	v_subrev_nc_u32_e32 v3, 64, v3
	s_add_u32 s8, s2, s8
	s_addc_u32 s9, s3, s9
	s_cmp_le_i32 s5, s4
	v_add_co_u32 v7, vcc_lo, s0, v7
	v_add_co_ci_u32_e64 v8, null, s1, v8, vcc_lo
	s_load_dwordx2 s[8:9], s[8:9], 0x0
	global_load_dword v4, v[7:8], off
	v_max_f32_e32 v7, v0, v0
	s_waitcnt lgkmcnt(0)
	v_max_f32_e64 v8, s8, s8
	v_max_f32_e32 v7, v7, v8
	v_sub_f32_e32 v8, s8, v7
	v_sub_f32_e32 v0, v0, v7
	v_mul_f32_e32 v9, 0x3fb8aa3b, v8
	v_mul_f32_e32 v12, 0x3fb8aa3b, v0
	v_cmp_ngt_f32_e32 vcc_lo, 0xc2ce8ed0, v8
	v_fma_f32 v10, 0x3fb8aa3b, v8, -v9
	v_rndne_f32_e32 v11, v9
	v_fma_f32 v13, 0x3fb8aa3b, v0, -v12
	v_rndne_f32_e32 v14, v12
	v_fmac_f32_e32 v10, 0x32a5705f, v8
	v_sub_f32_e32 v9, v9, v11
	v_fmac_f32_e32 v13, 0x32a5705f, v0
	v_cvt_i32_f32_e32 v11, v11
	v_add_f32_e32 v9, v9, v10
	v_sub_f32_e32 v10, v12, v14
	v_exp_f32_e32 v9, v9
	v_add_f32_e32 v10, v10, v13
	v_exp_f32_e32 v10, v10
	v_ldexp_f32 v9, v9, v11
	v_cvt_i32_f32_e32 v11, v14
	v_cndmask_b32_e32 v9, 0, v9, vcc_lo
	v_cmp_nlt_f32_e32 vcc_lo, 0x42b17218, v8
	v_ldexp_f32 v10, v10, v11
	v_mov_b32_e32 v11, v6
	v_cndmask_b32_e32 v9, 0x7f800000, v9, vcc_lo
	v_cmp_ngt_f32_e32 vcc_lo, 0xc2ce8ed0, v0
	v_cndmask_b32_e32 v10, 0, v10, vcc_lo
	v_cmp_le_f32_e32 vcc_lo, 0xc1a00000, v8
	v_cndmask_b32_e32 v8, 0, v9, vcc_lo
	v_cmp_nlt_f32_e32 vcc_lo, 0x42b17218, v0
	s_waitcnt vmcnt(1)
	v_mov_b32_e32 v9, v5
	v_cndmask_b32_e32 v5, 0x7f800000, v10, vcc_lo
	v_mul_f32_e32 v10, s9, v8
	v_cmp_le_f32_e32 vcc_lo, 0xc1a00000, v0
	v_mov_b32_e32 v0, v7
	v_mov_b32_e32 v6, v10
	v_cndmask_b32_e32 v12, 0, v5, vcc_lo
	v_fmac_f32_e32 v6, v11, v12
	s_waitcnt vmcnt(0)
	v_mul_f32_e32 v5, v4, v8
	v_fmac_f32_e32 v5, v9, v12
	s_cbranch_scc0 .LBB2_3
	s_branch .LBB2_5
.LBB2_4:
	s_waitcnt lgkmcnt(0)
	v_mov_b32_e32 v6, s8
.LBB2_5:
	s_waitcnt vmcnt(0)
	v_div_scale_f32 v0, null, v6, v6, v5
	v_rcp_f32_e32 v3, v0
	v_fma_f32 v4, -v0, v3, 1.0
	v_fmac_f32_e32 v3, v4, v3
	v_div_scale_f32 v4, vcc_lo, v5, v6, v5
	v_mul_f32_e32 v7, v4, v3
	v_fma_f32 v8, -v0, v7, v4
	v_fmac_f32_e32 v7, v8, v3
	v_fma_f32 v0, -v0, v7, v4
	v_div_fmas_f32 v0, v0, v3, v7
	v_div_fixup_f32 v0, v0, v6, v5
	global_store_dword v[1:2], v0, off
.LBB2_6:
	s_endpgm
	.section	.rodata,"a",@progbits
	.p2align	6, 0x0
	.amdhsa_kernel _ZL33flash_attn_stream_k_fixup_uniformILi64ELi1ELi1EEvPfPK15HIP_vector_typeIfLj2EEiiiiiiS1_IjLj3EES5_S5_
		.amdhsa_group_segment_fixed_size 0
		.amdhsa_private_segment_fixed_size 0
		.amdhsa_kernarg_size 76
		.amdhsa_user_sgpr_count 6
		.amdhsa_user_sgpr_private_segment_buffer 1
		.amdhsa_user_sgpr_dispatch_ptr 0
		.amdhsa_user_sgpr_queue_ptr 0
		.amdhsa_user_sgpr_kernarg_segment_ptr 1
		.amdhsa_user_sgpr_dispatch_id 0
		.amdhsa_user_sgpr_flat_scratch_init 0
		.amdhsa_user_sgpr_private_segment_size 0
		.amdhsa_wavefront_size32 1
		.amdhsa_uses_dynamic_stack 0
		.amdhsa_system_sgpr_private_segment_wavefront_offset 0
		.amdhsa_system_sgpr_workgroup_id_x 1
		.amdhsa_system_sgpr_workgroup_id_y 1
		.amdhsa_system_sgpr_workgroup_id_z 1
		.amdhsa_system_sgpr_workgroup_info 0
		.amdhsa_system_vgpr_workitem_id 0
		.amdhsa_next_free_vgpr 15
		.amdhsa_next_free_sgpr 20
		.amdhsa_reserve_vcc 1
		.amdhsa_reserve_flat_scratch 0
		.amdhsa_float_round_mode_32 0
		.amdhsa_float_round_mode_16_64 0
		.amdhsa_float_denorm_mode_32 3
		.amdhsa_float_denorm_mode_16_64 3
		.amdhsa_dx10_clamp 1
		.amdhsa_ieee_mode 1
		.amdhsa_fp16_overflow 0
		.amdhsa_workgroup_processor_mode 1
		.amdhsa_memory_ordered 1
		.amdhsa_forward_progress 1
		.amdhsa_shared_vgpr_count 0
		.amdhsa_exception_fp_ieee_invalid_op 0
		.amdhsa_exception_fp_denorm_src 0
		.amdhsa_exception_fp_ieee_div_zero 0
		.amdhsa_exception_fp_ieee_overflow 0
		.amdhsa_exception_fp_ieee_underflow 0
		.amdhsa_exception_fp_ieee_inexact 0
		.amdhsa_exception_int_div_zero 0
	.end_amdhsa_kernel
	.section	.text._ZL33flash_attn_stream_k_fixup_uniformILi64ELi1ELi1EEvPfPK15HIP_vector_typeIfLj2EEiiiiiiS1_IjLj3EES5_S5_,"axG",@progbits,_ZL33flash_attn_stream_k_fixup_uniformILi64ELi1ELi1EEvPfPK15HIP_vector_typeIfLj2EEiiiiiiS1_IjLj3EES5_S5_,comdat
.Lfunc_end2:
	.size	_ZL33flash_attn_stream_k_fixup_uniformILi64ELi1ELi1EEvPfPK15HIP_vector_typeIfLj2EEiiiiiiS1_IjLj3EES5_S5_, .Lfunc_end2-_ZL33flash_attn_stream_k_fixup_uniformILi64ELi1ELi1EEvPfPK15HIP_vector_typeIfLj2EEiiiiiiS1_IjLj3EES5_S5_
                                        ; -- End function
	.set _ZL33flash_attn_stream_k_fixup_uniformILi64ELi1ELi1EEvPfPK15HIP_vector_typeIfLj2EEiiiiiiS1_IjLj3EES5_S5_.num_vgpr, 15
	.set _ZL33flash_attn_stream_k_fixup_uniformILi64ELi1ELi1EEvPfPK15HIP_vector_typeIfLj2EEiiiiiiS1_IjLj3EES5_S5_.num_agpr, 0
	.set _ZL33flash_attn_stream_k_fixup_uniformILi64ELi1ELi1EEvPfPK15HIP_vector_typeIfLj2EEiiiiiiS1_IjLj3EES5_S5_.numbered_sgpr, 20
	.set _ZL33flash_attn_stream_k_fixup_uniformILi64ELi1ELi1EEvPfPK15HIP_vector_typeIfLj2EEiiiiiiS1_IjLj3EES5_S5_.num_named_barrier, 0
	.set _ZL33flash_attn_stream_k_fixup_uniformILi64ELi1ELi1EEvPfPK15HIP_vector_typeIfLj2EEiiiiiiS1_IjLj3EES5_S5_.private_seg_size, 0
	.set _ZL33flash_attn_stream_k_fixup_uniformILi64ELi1ELi1EEvPfPK15HIP_vector_typeIfLj2EEiiiiiiS1_IjLj3EES5_S5_.uses_vcc, 1
	.set _ZL33flash_attn_stream_k_fixup_uniformILi64ELi1ELi1EEvPfPK15HIP_vector_typeIfLj2EEiiiiiiS1_IjLj3EES5_S5_.uses_flat_scratch, 0
	.set _ZL33flash_attn_stream_k_fixup_uniformILi64ELi1ELi1EEvPfPK15HIP_vector_typeIfLj2EEiiiiiiS1_IjLj3EES5_S5_.has_dyn_sized_stack, 0
	.set _ZL33flash_attn_stream_k_fixup_uniformILi64ELi1ELi1EEvPfPK15HIP_vector_typeIfLj2EEiiiiiiS1_IjLj3EES5_S5_.has_recursion, 0
	.set _ZL33flash_attn_stream_k_fixup_uniformILi64ELi1ELi1EEvPfPK15HIP_vector_typeIfLj2EEiiiiiiS1_IjLj3EES5_S5_.has_indirect_call, 0
	.section	.AMDGPU.csdata,"",@progbits
; Kernel info:
; codeLenInByte = 772
; TotalNumSgprs: 22
; NumVgprs: 15
; ScratchSize: 0
; MemoryBound: 0
; FloatMode: 240
; IeeeMode: 1
; LDSByteSize: 0 bytes/workgroup (compile time only)
; SGPRBlocks: 0
; VGPRBlocks: 1
; NumSGPRsForWavesPerEU: 22
; NumVGPRsForWavesPerEU: 15
; Occupancy: 16
; WaveLimiterHint : 0
; COMPUTE_PGM_RSRC2:SCRATCH_EN: 0
; COMPUTE_PGM_RSRC2:USER_SGPR: 6
; COMPUTE_PGM_RSRC2:TRAP_HANDLER: 0
; COMPUTE_PGM_RSRC2:TGID_X_EN: 1
; COMPUTE_PGM_RSRC2:TGID_Y_EN: 1
; COMPUTE_PGM_RSRC2:TGID_Z_EN: 1
; COMPUTE_PGM_RSRC2:TIDIG_COMP_CNT: 0
	.section	.text._ZL33flash_attn_stream_k_fixup_generalILi64ELi1ELi1EEvPfPK15HIP_vector_typeIfLj2EEiiiiS1_IjLj3EES5_S5_S5_,"axG",@progbits,_ZL33flash_attn_stream_k_fixup_generalILi64ELi1ELi1EEvPfPK15HIP_vector_typeIfLj2EEiiiiS1_IjLj3EES5_S5_S5_,comdat
	.globl	_ZL33flash_attn_stream_k_fixup_generalILi64ELi1ELi1EEvPfPK15HIP_vector_typeIfLj2EEiiiiS1_IjLj3EES5_S5_S5_ ; -- Begin function _ZL33flash_attn_stream_k_fixup_generalILi64ELi1ELi1EEvPfPK15HIP_vector_typeIfLj2EEiiiiS1_IjLj3EES5_S5_S5_
	.p2align	8
	.type	_ZL33flash_attn_stream_k_fixup_generalILi64ELi1ELi1EEvPfPK15HIP_vector_typeIfLj2EEiiiiS1_IjLj3EES5_S5_S5_,@function
_ZL33flash_attn_stream_k_fixup_generalILi64ELi1ELi1EEvPfPK15HIP_vector_typeIfLj2EEiiiiS1_IjLj3EES5_S5_S5_: ; @_ZL33flash_attn_stream_k_fixup_generalILi64ELi1ELi1EEvPfPK15HIP_vector_typeIfLj2EEiiiiS1_IjLj3EES5_S5_S5_
; %bb.0:
	s_clause 0x1
	s_load_dwordx4 s[0:3], s[4:5], 0x10
	s_load_dword s9, s[4:5], 0x50
	s_mov_b32 s16, 0
	s_waitcnt lgkmcnt(0)
	s_mul_hi_i32 s17, s3, s6
	s_mul_i32 s18, s3, s6
	s_cmp_lg_u64 s[16:17], 0
	s_cbranch_scc0 .LBB3_21
; %bb.1:
	s_add_u32 s10, s9, 0
	s_addc_u32 s11, 0, 0
	s_xor_b64 s[10:11], s[10:11], 0
	v_cvt_f32_u32_e32 v1, s10
	v_cvt_f32_u32_e32 v2, s11
	s_sub_u32 s14, 0, s10
	s_subb_u32 s15, 0, s11
	v_fmamk_f32 v1, v2, 0x4f800000, v1
	v_rcp_f32_e32 v1, v1
	v_mul_f32_e32 v1, 0x5f7ffffc, v1
	v_mul_f32_e32 v2, 0x2f800000, v1
	v_trunc_f32_e32 v2, v2
	v_fmamk_f32 v1, v2, 0xcf800000, v1
	v_cvt_u32_f32_e32 v2, v2
	v_cvt_u32_f32_e32 v1, v1
	v_readfirstlane_b32 s12, v2
	v_readfirstlane_b32 s13, v1
	s_mul_i32 s19, s14, s12
	s_mul_hi_u32 s21, s14, s13
	s_mul_i32 s20, s15, s13
	s_add_i32 s19, s21, s19
	s_mul_i32 s22, s14, s13
	s_add_i32 s19, s19, s20
	s_mul_hi_u32 s21, s13, s22
	s_mul_i32 s24, s13, s19
	s_mul_hi_u32 s23, s12, s22
	s_mul_i32 s20, s12, s22
	s_mul_hi_u32 s22, s13, s19
	s_add_u32 s21, s21, s24
	s_addc_u32 s22, 0, s22
	s_mul_hi_u32 s25, s12, s19
	s_add_u32 s20, s21, s20
	s_mul_i32 s19, s12, s19
	s_addc_u32 s20, s22, s23
	s_addc_u32 s21, s25, 0
	s_add_u32 s19, s20, s19
	s_addc_u32 s20, 0, s21
	s_add_u32 s13, s13, s19
	s_cselect_b32 s19, -1, 0
	s_mul_hi_u32 s21, s14, s13
	s_cmp_lg_u32 s19, 0
	s_mul_i32 s19, s14, s13
	s_addc_u32 s12, s12, s20
	s_mul_i32 s15, s15, s13
	s_mul_i32 s14, s14, s12
	s_mul_hi_u32 s20, s13, s19
	s_add_i32 s14, s21, s14
	s_mul_hi_u32 s21, s12, s19
	s_add_i32 s14, s14, s15
	s_mul_i32 s15, s12, s19
	s_mul_i32 s23, s13, s14
	s_mul_hi_u32 s22, s13, s14
	s_add_u32 s20, s20, s23
	s_addc_u32 s22, 0, s22
	s_mul_hi_u32 s19, s12, s14
	s_add_u32 s15, s20, s15
	s_mul_i32 s14, s12, s14
	s_addc_u32 s15, s22, s21
	s_addc_u32 s19, s19, 0
	s_add_u32 s14, s15, s14
	s_addc_u32 s15, 0, s19
	s_add_u32 s19, s13, s14
	s_cselect_b32 s13, -1, 0
	s_cmp_lg_u32 s13, 0
	s_addc_u32 s20, s12, s15
	s_ashr_i32 s12, s17, 31
	s_add_u32 s14, s18, s12
	s_mov_b32 s13, s12
	s_addc_u32 s15, s17, s12
	s_xor_b64 s[14:15], s[14:15], s[12:13]
	s_mul_i32 s21, s14, s20
	s_mul_hi_u32 s22, s14, s19
	s_mul_hi_u32 s17, s14, s20
	s_mul_hi_u32 s24, s15, s19
	s_mul_i32 s19, s15, s19
	s_add_u32 s21, s22, s21
	s_addc_u32 s17, 0, s17
	s_mul_hi_u32 s23, s15, s20
	s_add_u32 s19, s21, s19
	s_mul_i32 s20, s15, s20
	s_addc_u32 s17, s17, s24
	s_addc_u32 s19, s23, 0
	s_add_u32 s17, s17, s20
	s_addc_u32 s19, 0, s19
	s_mul_hi_u32 s20, s10, s17
	s_mul_i32 s21, s10, s19
	s_mul_i32 s22, s11, s17
	s_add_i32 s20, s20, s21
	s_mul_i32 s21, s10, s17
	s_add_i32 s20, s20, s22
	s_sub_i32 s22, s15, s20
	s_sub_u32 s14, s14, s21
	s_cselect_b32 s21, -1, 0
	s_cmp_lg_u32 s21, 0
	s_subb_u32 s22, s22, s11
	s_sub_u32 s23, s14, s10
	s_cselect_b32 s24, -1, 0
	s_cmp_lg_u32 s24, 0
	s_subb_u32 s22, s22, 0
	s_cmp_ge_u32 s22, s11
	s_cselect_b32 s24, -1, 0
	s_cmp_ge_u32 s23, s10
	s_cselect_b32 s23, -1, 0
	s_cmp_eq_u32 s22, s11
	s_cselect_b32 s22, s23, s24
	s_add_u32 s23, s17, 1
	s_addc_u32 s24, s19, 0
	s_add_u32 s25, s17, 2
	s_addc_u32 s26, s19, 0
	s_cmp_lg_u32 s22, 0
	s_cselect_b32 s22, s25, s23
	s_cselect_b32 s23, s26, s24
	s_cmp_lg_u32 s21, 0
	s_subb_u32 s15, s15, s20
	s_cmp_ge_u32 s15, s11
	s_cselect_b32 s20, -1, 0
	s_cmp_ge_u32 s14, s10
	s_cselect_b32 s10, -1, 0
	s_cmp_eq_u32 s15, s11
	s_cselect_b32 s10, s10, s20
	s_cmp_lg_u32 s10, 0
	s_cselect_b32 s11, s23, s19
	s_cselect_b32 s10, s22, s17
	s_xor_b64 s[12:13], s[12:13], 0
	s_xor_b64 s[10:11], s[10:11], s[12:13]
	s_sub_u32 s10, s10, s12
	s_load_dwordx4 s[12:15], s[4:5], 0x44
	s_andn2_b32 vcc_lo, exec_lo, s16
	s_cbranch_vccnz .LBB3_3
.LBB3_2:
	v_cvt_f32_u32_e32 v1, s9
	s_sub_i32 s11, 0, s9
	v_rcp_iflag_f32_e32 v1, v1
	v_mul_f32_e32 v1, 0x4f7ffffe, v1
	v_cvt_u32_f32_e32 v1, v1
	v_readfirstlane_b32 s10, v1
	s_mul_i32 s11, s11, s10
	s_mul_hi_u32 s11, s10, s11
	s_add_i32 s10, s10, s11
	s_mul_hi_u32 s10, s18, s10
	s_mul_i32 s11, s10, s9
	s_waitcnt lgkmcnt(0)
	s_add_i32 s15, s10, 1
	s_sub_i32 s11, s18, s11
	s_sub_i32 s16, s11, s9
	s_cmp_ge_u32 s11, s9
	s_cselect_b32 s10, s15, s10
	s_cselect_b32 s11, s16, s11
	s_add_i32 s15, s10, 1
	s_cmp_ge_u32 s11, s9
	s_cselect_b32 s10, s15, s10
.LBB3_3:
	s_add_i32 s11, s6, 1
	s_mov_b32 s16, 0
	s_mul_hi_i32 s17, s3, s11
	s_mul_i32 s11, s3, s11
	s_cmp_lg_u64 s[16:17], 0
	s_cbranch_scc0 .LBB3_22
; %bb.4:
	s_add_u32 s18, s9, 0
	s_addc_u32 s19, 0, 0
	s_xor_b64 s[18:19], s[18:19], 0
	v_cvt_f32_u32_e32 v1, s18
	v_cvt_f32_u32_e32 v2, s19
	s_sub_u32 s21, 0, s18
	s_subb_u32 s22, 0, s19
	v_fmamk_f32 v1, v2, 0x4f800000, v1
	v_rcp_f32_e32 v1, v1
	v_mul_f32_e32 v1, 0x5f7ffffc, v1
	v_mul_f32_e32 v2, 0x2f800000, v1
	v_trunc_f32_e32 v2, v2
	v_fmamk_f32 v1, v2, 0xcf800000, v1
	v_cvt_u32_f32_e32 v2, v2
	v_cvt_u32_f32_e32 v1, v1
	s_waitcnt lgkmcnt(0)
	v_readfirstlane_b32 s15, v2
	v_readfirstlane_b32 s20, v1
	s_mul_i32 s23, s21, s15
	s_mul_hi_u32 s25, s21, s20
	s_mul_i32 s24, s22, s20
	s_add_i32 s23, s25, s23
	s_mul_i32 s26, s21, s20
	s_add_i32 s23, s23, s24
	s_mul_hi_u32 s25, s20, s26
	s_mul_i32 s28, s20, s23
	s_mul_hi_u32 s27, s15, s26
	s_mul_i32 s24, s15, s26
	s_mul_hi_u32 s26, s20, s23
	s_add_u32 s25, s25, s28
	s_addc_u32 s26, 0, s26
	s_mul_hi_u32 s29, s15, s23
	s_add_u32 s24, s25, s24
	s_mul_i32 s23, s15, s23
	s_addc_u32 s24, s26, s27
	s_addc_u32 s25, s29, 0
	s_add_u32 s23, s24, s23
	s_addc_u32 s24, 0, s25
	s_add_u32 s20, s20, s23
	s_cselect_b32 s23, -1, 0
	s_mul_hi_u32 s25, s21, s20
	s_cmp_lg_u32 s23, 0
	s_mul_i32 s23, s21, s20
	s_addc_u32 s15, s15, s24
	s_mul_i32 s22, s22, s20
	s_mul_i32 s21, s21, s15
	s_mul_hi_u32 s24, s20, s23
	s_add_i32 s21, s25, s21
	s_mul_hi_u32 s25, s15, s23
	s_add_i32 s21, s21, s22
	s_mul_i32 s22, s15, s23
	s_mul_i32 s27, s20, s21
	s_mul_hi_u32 s26, s20, s21
	s_add_u32 s24, s24, s27
	s_addc_u32 s26, 0, s26
	s_mul_hi_u32 s23, s15, s21
	s_add_u32 s22, s24, s22
	s_mul_i32 s21, s15, s21
	s_addc_u32 s22, s26, s25
	s_addc_u32 s23, s23, 0
	s_add_u32 s21, s22, s21
	s_addc_u32 s22, 0, s23
	s_add_u32 s24, s20, s21
	s_cselect_b32 s20, -1, 0
	s_cmp_lg_u32 s20, 0
	s_addc_u32 s15, s15, s22
	s_ashr_i32 s20, s17, 31
	s_add_u32 s22, s11, s20
	s_mov_b32 s21, s20
	s_addc_u32 s23, s17, s20
	s_xor_b64 s[22:23], s[22:23], s[20:21]
	s_mul_i32 s25, s22, s15
	s_mul_hi_u32 s26, s22, s24
	s_mul_hi_u32 s17, s22, s15
	;; [unrolled: 1-line block ×3, first 2 shown]
	s_mul_i32 s24, s23, s24
	s_add_u32 s25, s26, s25
	s_addc_u32 s17, 0, s17
	s_mul_hi_u32 s27, s23, s15
	s_add_u32 s24, s25, s24
	s_mul_i32 s15, s23, s15
	s_addc_u32 s17, s17, s28
	s_addc_u32 s24, s27, 0
	s_add_u32 s15, s17, s15
	s_addc_u32 s17, 0, s24
	s_mul_hi_u32 s24, s18, s15
	s_mul_i32 s25, s18, s17
	s_mul_i32 s26, s19, s15
	s_add_i32 s24, s24, s25
	s_mul_i32 s25, s18, s15
	s_add_i32 s24, s24, s26
	s_sub_i32 s26, s23, s24
	s_sub_u32 s22, s22, s25
	s_cselect_b32 s25, -1, 0
	s_cmp_lg_u32 s25, 0
	s_subb_u32 s26, s26, s19
	s_sub_u32 s27, s22, s18
	s_cselect_b32 s28, -1, 0
	s_cmp_lg_u32 s28, 0
	s_subb_u32 s26, s26, 0
	s_cmp_ge_u32 s26, s19
	s_cselect_b32 s28, -1, 0
	s_cmp_ge_u32 s27, s18
	s_cselect_b32 s27, -1, 0
	s_cmp_eq_u32 s26, s19
	s_cselect_b32 s26, s27, s28
	s_add_u32 s27, s15, 1
	s_addc_u32 s28, s17, 0
	s_add_u32 s29, s15, 2
	s_addc_u32 s30, s17, 0
	s_cmp_lg_u32 s26, 0
	s_cselect_b32 s26, s29, s27
	s_cselect_b32 s27, s30, s28
	s_cmp_lg_u32 s25, 0
	s_subb_u32 s23, s23, s24
	s_cmp_ge_u32 s23, s19
	s_cselect_b32 s24, -1, 0
	s_cmp_ge_u32 s22, s18
	s_cselect_b32 s18, -1, 0
	s_cmp_eq_u32 s23, s19
	s_cselect_b32 s18, s18, s24
	s_cmp_lg_u32 s18, 0
	s_cselect_b32 s19, s27, s17
	s_cselect_b32 s18, s26, s15
	s_xor_b64 s[20:21], s[20:21], 0
	s_xor_b64 s[18:19], s[18:19], s[20:21]
	s_sub_u32 s18, s18, s20
	s_andn2_b32 vcc_lo, exec_lo, s16
	s_cbranch_vccnz .LBB3_6
.LBB3_5:
	v_cvt_f32_u32_e32 v1, s9
	s_sub_i32 s16, 0, s9
	v_rcp_iflag_f32_e32 v1, v1
	v_mul_f32_e32 v1, 0x4f7ffffe, v1
	v_cvt_u32_f32_e32 v1, v1
	s_waitcnt lgkmcnt(0)
	v_readfirstlane_b32 s15, v1
	s_mul_i32 s16, s16, s15
	s_mul_hi_u32 s16, s15, s16
	s_add_i32 s15, s15, s16
	s_mul_hi_u32 s15, s11, s15
	s_mul_i32 s16, s15, s9
	s_sub_i32 s11, s11, s16
	s_add_i32 s16, s15, 1
	s_sub_i32 s17, s11, s9
	s_cmp_ge_u32 s11, s9
	s_cselect_b32 s15, s16, s15
	s_cselect_b32 s11, s17, s11
	s_add_i32 s16, s15, 1
	s_cmp_ge_u32 s11, s9
	s_cselect_b32 s18, s16, s15
.LBB3_6:
	s_cmp_eq_u32 s10, s18
	s_waitcnt lgkmcnt(0)
	s_mul_hi_u32 s11, s10, s12
	s_cselect_b32 s15, -1, 0
	s_add_i32 s11, s11, s10
	s_lshr_b32 s11, s11, s13
	s_mul_i32 s16, s11, s14
	s_cmp_eq_u32 s16, s10
	s_mul_hi_u32 s16, s18, s12
	s_cselect_b32 s17, -1, 0
	s_add_i32 s16, s16, s18
	s_lshr_b32 s16, s16, s13
	s_cmp_eq_u32 s11, s16
	s_mul_i32 s16, s16, s14
	s_cselect_b32 s19, -1, 0
	s_cmp_lg_u32 s16, s18
	s_cselect_b32 s16, -1, 0
	s_or_b32 s15, s15, s17
	s_and_b32 s16, s19, s16
	s_or_b32 s15, s15, s16
	s_and_b32 vcc_lo, exec_lo, s15
	s_cbranch_vccnz .LBB3_24
; %bb.7:
	s_load_dwordx8 s[16:23], s[4:5], 0x20
	s_waitcnt lgkmcnt(0)
	s_mul_hi_u32 s15, s10, s16
	s_load_dword s16, s[4:5], 0x40
	s_add_i32 s15, s15, s10
	s_lshr_b32 s15, s15, s17
	s_mul_i32 s17, s15, s18
	s_sub_i32 s17, s10, s17
	s_mul_hi_u32 s18, s17, s19
	s_add_i32 s18, s17, s18
	s_lshr_b32 s20, s18, s20
	s_mul_i32 s18, s20, s21
	s_sub_i32 s17, s17, s18
	s_mul_hi_u32 s18, s17, s22
	s_add_i32 s18, s17, s18
	s_lshr_b32 s22, s18, s23
	s_waitcnt lgkmcnt(0)
	s_mul_i32 s16, s22, s16
	s_sub_i32 s16, s17, s16
	s_mul_hi_u32 s17, s16, s12
	s_add_i32 s16, s16, s17
	s_lshr_b32 s21, s16, s13
	s_add_i32 s21, s21, s7
	s_cmp_lt_i32 s21, s0
	s_cselect_b32 s16, -1, 0
	s_add_i32 s22, s22, s8
	s_cmp_lt_i32 s22, s2
	s_cselect_b32 s17, -1, 0
	s_and_b32 s16, s16, s17
	s_andn2_b32 vcc_lo, exec_lo, s16
	s_cbranch_vccnz .LBB3_24
; %bb.8:
	s_load_dwordx4 s[16:19], s[4:5], 0x0
	s_mov_b32 s4, 0
	s_lshl_b32 s24, s9, 2
	s_mov_b32 s25, s4
	s_add_i32 s8, s7, s8
	s_lshl_b64 s[24:25], s[24:25], 2
	s_mul_i32 s0, s15, s0
	s_mul_i32 s20, s20, s2
	v_cvt_f32_u32_e32 v3, s9
	v_rcp_iflag_f32_e32 v3, v3
	s_waitcnt lgkmcnt(0)
	s_add_u32 s2, s18, s24
	s_addc_u32 s15, s19, s25
	s_add_i32 s0, s21, s0
	s_add_i32 s5, s22, s20
	s_mul_i32 s0, s0, s1
	v_mul_f32_e32 v3, 0x4f7ffffe, v3
	s_add_i32 s5, s5, s0
	s_add_i32 s0, s8, s6
	v_lshl_or_b32 v1, s5, 6, v0
	s_ashr_i32 s1, s0, 31
	v_cvt_u32_f32_e32 v3, v3
	s_lshl_b64 s[0:1], s[0:1], 3
	v_ashrrev_i32_e32 v2, 31, v1
	s_add_u32 s0, s18, s0
	s_addc_u32 s1, s19, s1
	s_load_dwordx2 s[0:1], s[0:1], 0x0
	v_lshlrev_b64 v[1:2], 2, v[1:2]
	v_add_co_u32 v1, vcc_lo, s16, v1
	v_add_co_ci_u32_e64 v2, null, s17, v2, vcc_lo
	s_add_i32 s17, s6, -1
	s_sub_i32 s16, 0, s9
	global_load_dword v4, v[1:2], off
	s_waitcnt lgkmcnt(0)
	v_mov_b32_e32 v5, s1
	v_mov_b32_e32 v6, s0
.LBB3_9:                                ; =>This Inner Loop Header: Depth=1
	s_mul_hi_i32 s5, s17, s3
	s_mul_i32 s6, s17, s3
	s_cmp_lg_u64 s[4:5], 0
	s_mov_b32 s7, -1
                                        ; implicit-def: $sgpr0_sgpr1
	s_cbranch_scc0 .LBB3_11
; %bb.10:                               ;   in Loop: Header=BB3_9 Depth=1
	s_add_u32 s0, s9, 0
	s_addc_u32 s1, 0, 0
	s_xor_b64 s[0:1], s[0:1], 0
	v_cvt_f32_u32_e32 v7, s0
	v_cvt_f32_u32_e32 v8, s1
	s_sub_u32 s21, 0, s0
	s_subb_u32 s22, 0, s1
	v_fmac_f32_e32 v7, 0x4f800000, v8
	v_rcp_f32_e32 v7, v7
	v_mul_f32_e32 v7, 0x5f7ffffc, v7
	v_mul_f32_e32 v8, 0x2f800000, v7
	v_trunc_f32_e32 v8, v8
	v_fmac_f32_e32 v7, 0xcf800000, v8
	v_cvt_u32_f32_e32 v8, v8
	v_cvt_u32_f32_e32 v7, v7
	v_readfirstlane_b32 s7, v8
	v_readfirstlane_b32 s20, v7
	s_mul_i32 s23, s21, s7
	s_mul_hi_u32 s25, s21, s20
	s_mul_i32 s24, s22, s20
	s_add_i32 s23, s25, s23
	s_mul_i32 s26, s21, s20
	s_add_i32 s23, s23, s24
	s_mul_hi_u32 s25, s20, s26
	s_mul_i32 s28, s20, s23
	s_mul_hi_u32 s27, s7, s26
	s_mul_i32 s24, s7, s26
	s_mul_hi_u32 s26, s20, s23
	s_add_u32 s25, s25, s28
	s_addc_u32 s26, 0, s26
	s_mul_hi_u32 s29, s7, s23
	s_add_u32 s24, s25, s24
	s_mul_i32 s23, s7, s23
	s_addc_u32 s24, s26, s27
	s_addc_u32 s25, s29, 0
	s_add_u32 s23, s24, s23
	s_addc_u32 s24, 0, s25
	s_add_u32 s20, s20, s23
	s_cselect_b32 s23, -1, 0
	s_mul_hi_u32 s25, s21, s20
	s_cmp_lg_u32 s23, 0
	s_mul_i32 s23, s21, s20
	s_addc_u32 s7, s7, s24
	s_mul_i32 s22, s22, s20
	s_mul_i32 s21, s21, s7
	s_mul_hi_u32 s24, s20, s23
	s_add_i32 s21, s25, s21
	s_mul_hi_u32 s25, s7, s23
	s_add_i32 s21, s21, s22
	s_mul_i32 s22, s7, s23
	s_mul_i32 s27, s20, s21
	s_mul_hi_u32 s26, s20, s21
	s_add_u32 s24, s24, s27
	s_addc_u32 s26, 0, s26
	s_mul_hi_u32 s23, s7, s21
	s_add_u32 s22, s24, s22
	s_mul_i32 s21, s7, s21
	s_addc_u32 s22, s26, s25
	s_addc_u32 s23, s23, 0
	s_add_u32 s21, s22, s21
	s_addc_u32 s22, 0, s23
	s_add_u32 s24, s20, s21
	s_cselect_b32 s20, -1, 0
	s_cmp_lg_u32 s20, 0
	s_addc_u32 s7, s7, s22
	s_ashr_i32 s20, s5, 31
	s_add_u32 s22, s6, s20
	s_mov_b32 s21, s20
	s_addc_u32 s23, s5, s20
	s_xor_b64 s[22:23], s[22:23], s[20:21]
	s_mul_i32 s25, s22, s7
	s_mul_hi_u32 s26, s22, s24
	s_mul_hi_u32 s5, s22, s7
	;; [unrolled: 1-line block ×3, first 2 shown]
	s_mul_i32 s24, s23, s24
	s_add_u32 s25, s26, s25
	s_addc_u32 s5, 0, s5
	s_mul_hi_u32 s27, s23, s7
	s_add_u32 s24, s25, s24
	s_mul_i32 s7, s23, s7
	s_addc_u32 s5, s5, s28
	s_addc_u32 s24, s27, 0
	s_add_u32 s5, s5, s7
	s_addc_u32 s7, 0, s24
	s_mul_hi_u32 s24, s0, s5
	s_mul_i32 s25, s0, s7
	s_mul_i32 s26, s1, s5
	s_add_i32 s24, s24, s25
	s_mul_i32 s25, s0, s5
	s_add_i32 s24, s24, s26
	s_sub_i32 s26, s23, s24
	s_sub_u32 s22, s22, s25
	s_cselect_b32 s25, -1, 0
	s_cmp_lg_u32 s25, 0
	s_subb_u32 s26, s26, s1
	s_sub_u32 s27, s22, s0
	s_cselect_b32 s28, -1, 0
	s_cmp_lg_u32 s28, 0
	s_subb_u32 s26, s26, 0
	s_cmp_ge_u32 s26, s1
	s_cselect_b32 s28, -1, 0
	s_cmp_ge_u32 s27, s0
	s_cselect_b32 s27, -1, 0
	s_cmp_eq_u32 s26, s1
	s_cselect_b32 s26, s27, s28
	s_add_u32 s27, s5, 1
	s_addc_u32 s28, s7, 0
	s_add_u32 s29, s5, 2
	s_addc_u32 s30, s7, 0
	s_cmp_lg_u32 s26, 0
	s_cselect_b32 s26, s29, s27
	s_cselect_b32 s27, s30, s28
	s_cmp_lg_u32 s25, 0
	s_subb_u32 s23, s23, s24
	s_cmp_ge_u32 s23, s1
	s_cselect_b32 s24, -1, 0
	s_cmp_ge_u32 s22, s0
	s_cselect_b32 s0, -1, 0
	s_cmp_eq_u32 s23, s1
	s_cselect_b32 s0, s0, s24
	s_cmp_lg_u32 s0, 0
	s_cselect_b32 s1, s27, s7
	s_cselect_b32 s0, s26, s5
	s_xor_b64 s[20:21], s[20:21], 0
	s_mov_b32 s7, 0
	s_xor_b64 s[0:1], s[0:1], s[20:21]
	s_sub_u32 s0, s0, s20
.LBB3_11:                               ;   in Loop: Header=BB3_9 Depth=1
	s_andn2_b32 vcc_lo, exec_lo, s7
	s_cbranch_vccnz .LBB3_13
; %bb.12:                               ;   in Loop: Header=BB3_9 Depth=1
	v_readfirstlane_b32 s0, v3
	s_mul_i32 s1, s16, s0
	s_mul_hi_u32 s1, s0, s1
	s_add_i32 s0, s0, s1
	s_mul_hi_u32 s0, s6, s0
	s_mul_i32 s1, s0, s9
	s_add_i32 s5, s0, 1
	s_sub_i32 s1, s6, s1
	s_sub_i32 s6, s1, s9
	s_cmp_ge_u32 s1, s9
	s_cselect_b32 s0, s5, s0
	s_cselect_b32 s1, s6, s1
	s_add_i32 s5, s0, 1
	s_cmp_ge_u32 s1, s9
	s_cselect_b32 s0, s5, s0
.LBB3_13:                               ;   in Loop: Header=BB3_9 Depth=1
	s_cmp_lg_u32 s10, s0
	s_mov_b32 s6, -1
                                        ; implicit-def: $sgpr5
                                        ; implicit-def: $vgpr8
                                        ; implicit-def: $vgpr7
                                        ; implicit-def: $vgpr9
                                        ; implicit-def: $sgpr1
                                        ; implicit-def: $sgpr20
	s_cbranch_scc0 .LBB3_18
; %bb.14:                               ;   in Loop: Header=BB3_9 Depth=1
	s_add_i32 s21, s17, s8
	s_mov_b32 s7, s4
	s_add_i32 s6, s21, s9
	s_mul_hi_u32 s1, s0, s12
	s_lshl_b64 s[6:7], s[6:7], 3
	s_mov_b32 s20, s10
	s_add_u32 s6, s18, s6
	s_addc_u32 s7, s19, s7
	s_add_i32 s1, s1, s0
	s_lshr_b32 s1, s1, s13
	s_mul_i32 s5, s1, s14
	s_cmp_eq_u32 s5, s0
	s_cselect_b32 s5, -1, 0
	s_cmp_lt_u32 s1, s11
	s_cselect_b32 s1, -1, 0
	s_or_b32 s1, s1, s5
	s_mov_b32 s5, -1
	s_and_b32 vcc_lo, exec_lo, s1
	s_mov_b32 s1, s17
	s_cbranch_vccnz .LBB3_16
; %bb.15:                               ;   in Loop: Header=BB3_9 Depth=1
	s_add_i32 s1, s17, -1
	s_mov_b32 s5, 0
	s_mov_b32 s20, s0
.LBB3_16:                               ;   in Loop: Header=BB3_9 Depth=1
	v_lshl_or_b32 v7, s21, 6, v0
	s_load_dwordx2 s[6:7], s[6:7], 0x0
	v_ashrrev_i32_e32 v8, 31, v7
	v_lshlrev_b64 v[7:8], 2, v[7:8]
	v_add_co_u32 v7, vcc_lo, s2, v7
	v_add_co_ci_u32_e64 v8, null, s15, v8, vcc_lo
	s_waitcnt lgkmcnt(0)
	v_max_f32_e64 v9, s6, s6
	global_load_dword v8, v[7:8], off
	v_max_f32_e32 v7, v6, v6
	v_max_f32_e32 v7, v7, v9
	v_sub_f32_e32 v9, s6, v7
	v_sub_f32_e32 v10, v6, v7
	v_mul_f32_e32 v11, 0x3fb8aa3b, v9
	v_mul_f32_e32 v12, 0x3fb8aa3b, v10
	v_cmp_ngt_f32_e32 vcc_lo, 0xc2ce8ed0, v9
	v_fma_f32 v13, 0x3fb8aa3b, v9, -v11
	v_rndne_f32_e32 v14, v11
	v_fma_f32 v15, 0x3fb8aa3b, v10, -v12
	v_rndne_f32_e32 v16, v12
	v_fmac_f32_e32 v13, 0x32a5705f, v9
	v_sub_f32_e32 v11, v11, v14
	v_fmac_f32_e32 v15, 0x32a5705f, v10
	v_sub_f32_e32 v12, v12, v16
	v_add_f32_e32 v11, v11, v13
	v_cvt_i32_f32_e32 v13, v14
	v_add_f32_e32 v12, v12, v15
	v_cvt_i32_f32_e32 v14, v16
	v_exp_f32_e32 v11, v11
	v_exp_f32_e32 v12, v12
	v_ldexp_f32 v11, v11, v13
	v_ldexp_f32 v12, v12, v14
	v_cndmask_b32_e32 v11, 0, v11, vcc_lo
	v_cmp_ngt_f32_e32 vcc_lo, 0xc2ce8ed0, v10
	v_cndmask_b32_e32 v12, 0, v12, vcc_lo
	v_cmp_nlt_f32_e32 vcc_lo, 0x42b17218, v9
	v_cndmask_b32_e32 v11, 0x7f800000, v11, vcc_lo
	v_cmp_nlt_f32_e32 vcc_lo, 0x42b17218, v10
	v_cndmask_b32_e32 v12, 0x7f800000, v12, vcc_lo
	v_cmp_le_f32_e32 vcc_lo, 0xc1a00000, v9
	v_cndmask_b32_e32 v9, 0, v11, vcc_lo
	v_cmp_le_f32_e32 vcc_lo, 0xc1a00000, v10
	v_cndmask_b32_e32 v10, 0, v12, vcc_lo
	s_waitcnt vmcnt(0)
	v_mul_f32_e32 v8, v8, v9
	v_mul_f32_e32 v9, s7, v9
	v_fmac_f32_e32 v8, v4, v10
	v_fmac_f32_e32 v9, v5, v10
	s_cbranch_execz .LBB3_19
.LBB3_17:                               ;   in Loop: Header=BB3_9 Depth=1
	s_andn2_b32 vcc_lo, exec_lo, s5
	s_cbranch_vccnz .LBB3_20
	s_branch .LBB3_23
.LBB3_18:                               ;   in Loop: Header=BB3_9 Depth=1
	s_andn2_b32 vcc_lo, exec_lo, s6
	s_cbranch_vccnz .LBB3_17
.LBB3_19:                               ;   in Loop: Header=BB3_9 Depth=1
	v_mov_b32_e32 v9, v5
	v_mov_b32_e32 v7, v6
	s_waitcnt vmcnt(0)
	v_mov_b32_e32 v8, v4
	s_add_i32 s1, s17, -1
	s_mov_b32 s20, s10
	s_cbranch_execz .LBB3_23
.LBB3_20:                               ;   in Loop: Header=BB3_9 Depth=1
	v_mov_b32_e32 v5, v9
	v_mov_b32_e32 v6, v7
	s_waitcnt vmcnt(0)
	v_mov_b32_e32 v4, v8
	s_mov_b32 s10, s20
	s_mov_b32 s17, s1
	s_branch .LBB3_9
.LBB3_21:
                                        ; implicit-def: $sgpr10_sgpr11
	s_load_dwordx4 s[12:15], s[4:5], 0x44
	s_branch .LBB3_2
.LBB3_22:
                                        ; implicit-def: $sgpr18_sgpr19
	s_branch .LBB3_5
.LBB3_23:
	v_div_scale_f32 v0, null, v9, v9, v8
	v_rcp_f32_e32 v3, v0
	s_waitcnt vmcnt(0)
	v_fma_f32 v4, -v0, v3, 1.0
	v_fmac_f32_e32 v3, v4, v3
	v_div_scale_f32 v4, vcc_lo, v8, v9, v8
	v_mul_f32_e32 v5, v4, v3
	v_fma_f32 v6, -v0, v5, v4
	v_fmac_f32_e32 v5, v6, v3
	v_fma_f32 v0, -v0, v5, v4
	v_div_fmas_f32 v0, v0, v3, v5
	v_div_fixup_f32 v0, v0, v9, v8
	global_store_dword v[1:2], v0, off
.LBB3_24:
	s_endpgm
	.section	.rodata,"a",@progbits
	.p2align	6, 0x0
	.amdhsa_kernel _ZL33flash_attn_stream_k_fixup_generalILi64ELi1ELi1EEvPfPK15HIP_vector_typeIfLj2EEiiiiS1_IjLj3EES5_S5_S5_
		.amdhsa_group_segment_fixed_size 0
		.amdhsa_private_segment_fixed_size 0
		.amdhsa_kernarg_size 336
		.amdhsa_user_sgpr_count 6
		.amdhsa_user_sgpr_private_segment_buffer 1
		.amdhsa_user_sgpr_dispatch_ptr 0
		.amdhsa_user_sgpr_queue_ptr 0
		.amdhsa_user_sgpr_kernarg_segment_ptr 1
		.amdhsa_user_sgpr_dispatch_id 0
		.amdhsa_user_sgpr_flat_scratch_init 0
		.amdhsa_user_sgpr_private_segment_size 0
		.amdhsa_wavefront_size32 1
		.amdhsa_uses_dynamic_stack 0
		.amdhsa_system_sgpr_private_segment_wavefront_offset 0
		.amdhsa_system_sgpr_workgroup_id_x 1
		.amdhsa_system_sgpr_workgroup_id_y 1
		.amdhsa_system_sgpr_workgroup_id_z 1
		.amdhsa_system_sgpr_workgroup_info 0
		.amdhsa_system_vgpr_workitem_id 0
		.amdhsa_next_free_vgpr 17
		.amdhsa_next_free_sgpr 31
		.amdhsa_reserve_vcc 1
		.amdhsa_reserve_flat_scratch 0
		.amdhsa_float_round_mode_32 0
		.amdhsa_float_round_mode_16_64 0
		.amdhsa_float_denorm_mode_32 3
		.amdhsa_float_denorm_mode_16_64 3
		.amdhsa_dx10_clamp 1
		.amdhsa_ieee_mode 1
		.amdhsa_fp16_overflow 0
		.amdhsa_workgroup_processor_mode 1
		.amdhsa_memory_ordered 1
		.amdhsa_forward_progress 1
		.amdhsa_shared_vgpr_count 0
		.amdhsa_exception_fp_ieee_invalid_op 0
		.amdhsa_exception_fp_denorm_src 0
		.amdhsa_exception_fp_ieee_div_zero 0
		.amdhsa_exception_fp_ieee_overflow 0
		.amdhsa_exception_fp_ieee_underflow 0
		.amdhsa_exception_fp_ieee_inexact 0
		.amdhsa_exception_int_div_zero 0
	.end_amdhsa_kernel
	.section	.text._ZL33flash_attn_stream_k_fixup_generalILi64ELi1ELi1EEvPfPK15HIP_vector_typeIfLj2EEiiiiS1_IjLj3EES5_S5_S5_,"axG",@progbits,_ZL33flash_attn_stream_k_fixup_generalILi64ELi1ELi1EEvPfPK15HIP_vector_typeIfLj2EEiiiiS1_IjLj3EES5_S5_S5_,comdat
.Lfunc_end3:
	.size	_ZL33flash_attn_stream_k_fixup_generalILi64ELi1ELi1EEvPfPK15HIP_vector_typeIfLj2EEiiiiS1_IjLj3EES5_S5_S5_, .Lfunc_end3-_ZL33flash_attn_stream_k_fixup_generalILi64ELi1ELi1EEvPfPK15HIP_vector_typeIfLj2EEiiiiS1_IjLj3EES5_S5_S5_
                                        ; -- End function
	.set _ZL33flash_attn_stream_k_fixup_generalILi64ELi1ELi1EEvPfPK15HIP_vector_typeIfLj2EEiiiiS1_IjLj3EES5_S5_S5_.num_vgpr, 17
	.set _ZL33flash_attn_stream_k_fixup_generalILi64ELi1ELi1EEvPfPK15HIP_vector_typeIfLj2EEiiiiS1_IjLj3EES5_S5_S5_.num_agpr, 0
	.set _ZL33flash_attn_stream_k_fixup_generalILi64ELi1ELi1EEvPfPK15HIP_vector_typeIfLj2EEiiiiS1_IjLj3EES5_S5_S5_.numbered_sgpr, 31
	.set _ZL33flash_attn_stream_k_fixup_generalILi64ELi1ELi1EEvPfPK15HIP_vector_typeIfLj2EEiiiiS1_IjLj3EES5_S5_S5_.num_named_barrier, 0
	.set _ZL33flash_attn_stream_k_fixup_generalILi64ELi1ELi1EEvPfPK15HIP_vector_typeIfLj2EEiiiiS1_IjLj3EES5_S5_S5_.private_seg_size, 0
	.set _ZL33flash_attn_stream_k_fixup_generalILi64ELi1ELi1EEvPfPK15HIP_vector_typeIfLj2EEiiiiS1_IjLj3EES5_S5_S5_.uses_vcc, 1
	.set _ZL33flash_attn_stream_k_fixup_generalILi64ELi1ELi1EEvPfPK15HIP_vector_typeIfLj2EEiiiiS1_IjLj3EES5_S5_S5_.uses_flat_scratch, 0
	.set _ZL33flash_attn_stream_k_fixup_generalILi64ELi1ELi1EEvPfPK15HIP_vector_typeIfLj2EEiiiiS1_IjLj3EES5_S5_S5_.has_dyn_sized_stack, 0
	.set _ZL33flash_attn_stream_k_fixup_generalILi64ELi1ELi1EEvPfPK15HIP_vector_typeIfLj2EEiiiiS1_IjLj3EES5_S5_S5_.has_recursion, 0
	.set _ZL33flash_attn_stream_k_fixup_generalILi64ELi1ELi1EEvPfPK15HIP_vector_typeIfLj2EEiiiiS1_IjLj3EES5_S5_S5_.has_indirect_call, 0
	.section	.AMDGPU.csdata,"",@progbits
; Kernel info:
; codeLenInByte = 2900
; TotalNumSgprs: 33
; NumVgprs: 17
; ScratchSize: 0
; MemoryBound: 0
; FloatMode: 240
; IeeeMode: 1
; LDSByteSize: 0 bytes/workgroup (compile time only)
; SGPRBlocks: 0
; VGPRBlocks: 2
; NumSGPRsForWavesPerEU: 33
; NumVGPRsForWavesPerEU: 17
; Occupancy: 16
; WaveLimiterHint : 0
; COMPUTE_PGM_RSRC2:SCRATCH_EN: 0
; COMPUTE_PGM_RSRC2:USER_SGPR: 6
; COMPUTE_PGM_RSRC2:TRAP_HANDLER: 0
; COMPUTE_PGM_RSRC2:TGID_X_EN: 1
; COMPUTE_PGM_RSRC2:TGID_Y_EN: 1
; COMPUTE_PGM_RSRC2:TGID_Z_EN: 1
; COMPUTE_PGM_RSRC2:TIDIG_COMP_CNT: 0
	.section	.text._ZL26flash_attn_combine_resultsILi64EEvPKfPK15HIP_vector_typeIfLj2EEPfi,"axG",@progbits,_ZL26flash_attn_combine_resultsILi64EEvPKfPK15HIP_vector_typeIfLj2EEPfi,comdat
	.globl	_ZL26flash_attn_combine_resultsILi64EEvPKfPK15HIP_vector_typeIfLj2EEPfi ; -- Begin function _ZL26flash_attn_combine_resultsILi64EEvPKfPK15HIP_vector_typeIfLj2EEPfi
	.p2align	8
	.type	_ZL26flash_attn_combine_resultsILi64EEvPKfPK15HIP_vector_typeIfLj2EEPfi,@function
_ZL26flash_attn_combine_resultsILi64EEvPKfPK15HIP_vector_typeIfLj2EEPfi: ; @_ZL26flash_attn_combine_resultsILi64EEvPKfPK15HIP_vector_typeIfLj2EEPfi
; %bb.0:
	s_clause 0x3
	s_load_dwordx2 s[2:3], s[4:5], 0x20
	s_load_dword s9, s[4:5], 0x18
	s_load_dwordx4 s[12:15], s[4:5], 0x0
	s_load_dwordx2 s[10:11], s[4:5], 0x10
	v_lshlrev_b32_e32 v5, 2, v0
	s_mov_b32 s4, exec_lo
	s_waitcnt lgkmcnt(0)
	s_mul_i32 s0, s2, s8
	s_lshl_b32 s1, s9, 1
	s_add_i32 s0, s0, s6
	s_mul_i32 s6, s0, s3
	s_add_i32 s6, s6, s7
	s_mul_i32 s2, s6, s9
	v_cmpx_gt_i32_e64 s1, v0
	s_cbranch_execz .LBB4_3
; %bb.1:
	s_ashr_i32 s3, s2, 31
	v_add_nc_u32_e32 v3, 0, v5
	s_lshl_b64 s[16:17], s[2:3], 3
	v_mov_b32_e32 v4, v0
	s_add_u32 s0, s14, s16
	s_addc_u32 s3, s15, s17
	v_add_co_u32 v1, s0, s0, v5
	v_add_co_ci_u32_e64 v2, null, s3, 0, s0
	s_mov_b32 s3, 0
	.p2align	6
.LBB4_2:                                ; =>This Inner Loop Header: Depth=1
	global_load_dword v6, v[1:2], off
	v_add_nc_u32_e32 v4, 64, v4
	v_add_co_u32 v1, vcc_lo, 0x100, v1
	v_add_co_ci_u32_e64 v2, null, 0, v2, vcc_lo
	v_cmp_le_i32_e64 s0, s1, v4
	s_or_b32 s3, s0, s3
	s_waitcnt vmcnt(0)
	ds_write_b32 v3, v6
	v_add_nc_u32_e32 v3, 0x100, v3
	s_andn2_b32 exec_lo, exec_lo, s3
	s_cbranch_execnz .LBB4_2
.LBB4_3:
	s_or_b32 exec_lo, exec_lo, s4
	v_mov_b32_e32 v1, 0
	s_waitcnt lgkmcnt(0)
	s_barrier
	buffer_gl0_inv
	s_cmp_lt_i32 s9, 2
	ds_read_b32 v6, v1
	s_cbranch_scc1 .LBB4_11
; %bb.4:
	s_add_i32 s1, s9, -2
	s_add_i32 s0, s9, -1
	s_cmp_lt_u32 s1, 7
	s_cbranch_scc1 .LBB4_8
; %bb.5:
	s_mov_b32 s3, 0
	s_add_i32 s1, 0, 8
	s_and_b32 s4, s0, -8
	.p2align	6
.LBB4_6:                                ; =>This Inner Loop Header: Depth=1
	v_mov_b32_e32 v9, s1
	s_mov_b32 s5, s3
	s_add_i32 s3, s3, 8
	s_add_i32 s1, s1, 64
	s_cmp_eq_u32 s4, s3
	ds_read2_b32 v[1:2], v9 offset1:2
	ds_read2_b32 v[3:4], v9 offset0:4 offset1:6
	ds_read2_b32 v[7:8], v9 offset0:8 offset1:10
	;; [unrolled: 1-line block ×3, first 2 shown]
	s_waitcnt lgkmcnt(3)
	v_max3_f32 v1, v6, v1, v2
	s_waitcnt lgkmcnt(2)
	v_max3_f32 v1, v1, v3, v4
	;; [unrolled: 2-line block ×4, first 2 shown]
	s_cbranch_scc0 .LBB4_6
; %bb.7:
	s_add_i32 s1, s5, 9
	s_and_b32 s0, s0, 7
	s_cmp_eq_u32 s0, 0
	s_cbranch_scc0 .LBB4_9
	s_branch .LBB4_11
.LBB4_8:
	s_mov_b32 s1, 1
	s_and_b32 s0, s0, 7
	s_cmp_eq_u32 s0, 0
	s_cbranch_scc1 .LBB4_11
.LBB4_9:
	s_lshl_b32 s1, s1, 3
	s_add_i32 s1, s1, 0
.LBB4_10:                               ; =>This Inner Loop Header: Depth=1
	v_mov_b32_e32 v1, s1
	s_waitcnt lgkmcnt(0)
	v_max_f32_e32 v2, v6, v6
	s_add_i32 s0, s0, -1
	s_add_i32 s1, s1, 8
	s_cmp_lg_u32 s0, 0
	ds_read_b32 v1, v1
	s_waitcnt lgkmcnt(0)
	v_max_f32_e32 v1, v1, v1
	v_max_f32_e32 v6, v2, v1
	s_cbranch_scc1 .LBB4_10
.LBB4_11:
	s_cmp_lt_i32 s9, 1
	s_cbranch_scc1 .LBB4_16
; %bb.12:
	s_lshl_b32 s0, s2, 6
	s_ashr_i32 s1, s0, 31
	s_lshl_b64 s[0:1], s[0:1], 2
	s_add_u32 s7, s12, s0
	s_addc_u32 s8, s13, s1
	s_cmp_lt_u32 s9, 8
	s_cbranch_scc1 .LBB4_17
; %bb.13:
	v_or_b32_e32 v1, 0x1c0, v0
	v_mov_b32_e32 v4, 0
	v_mov_b32_e32 v7, 0
	;; [unrolled: 1-line block ×3, first 2 shown]
	s_and_b32 s12, s9, 0x7ffffff8
	s_mov_b32 s13, 0
	s_mov_b32 s14, 0
.LBB4_14:                               ; =>This Inner Loop Header: Depth=1
	v_add_nc_u32_e32 v3, 0xfffffe40, v1
	v_mov_b32_e32 v2, v4
	v_mov_b32_e32 v21, s14
	s_add_i32 s13, s13, 8
	s_add_i32 s14, s14, 64
	v_lshlrev_b64 v[9:10], 2, v[3:4]
	v_add_nc_u32_e32 v3, 0xfffffe80, v1
	v_lshlrev_b64 v[11:12], 2, v[1:2]
	s_cmp_eq_u32 s12, s13
	v_lshlrev_b64 v[13:14], 2, v[3:4]
	v_add_nc_u32_e32 v3, 0xfffffec0, v1
	v_add_co_u32 v9, vcc_lo, s7, v9
	v_add_co_ci_u32_e64 v10, null, s8, v10, vcc_lo
	v_add_co_u32 v13, vcc_lo, s7, v13
	v_lshlrev_b64 v[15:16], 2, v[3:4]
	v_add_nc_u32_e32 v3, 0xffffff00, v1
	v_add_co_ci_u32_e64 v14, null, s8, v14, vcc_lo
	s_clause 0x1
	global_load_dword v25, v[9:10], off
	global_load_dword v26, v[13:14], off
	v_lshlrev_b64 v[9:10], 2, v[3:4]
	v_add_nc_u32_e32 v3, 0xffffff40, v1
	v_add_co_u32 v13, vcc_lo, s7, v15
	v_add_co_ci_u32_e64 v14, null, s8, v16, vcc_lo
	v_add_co_u32 v9, vcc_lo, s7, v9
	v_lshlrev_b64 v[15:16], 2, v[3:4]
	v_add_nc_u32_e32 v3, 0xffffff80, v1
	v_add_co_ci_u32_e64 v10, null, s8, v10, vcc_lo
	s_clause 0x1
	global_load_dword v27, v[13:14], off
	global_load_dword v28, v[9:10], off
	v_lshlrev_b64 v[13:14], 2, v[3:4]
	v_subrev_nc_u32_e32 v3, 64, v1
	v_add_co_u32 v9, vcc_lo, s7, v15
	v_add_co_ci_u32_e64 v10, null, s8, v16, vcc_lo
	v_add_co_u32 v13, vcc_lo, s7, v13
	v_lshlrev_b64 v[2:3], 2, v[3:4]
	v_add_co_ci_u32_e64 v14, null, s8, v14, vcc_lo
	s_clause 0x1
	global_load_dword v29, v[9:10], off
	global_load_dword v30, v[13:14], off
	v_add_co_u32 v2, vcc_lo, s7, v2
	v_add_co_ci_u32_e64 v3, null, s8, v3, vcc_lo
	v_add_co_u32 v9, vcc_lo, s7, v11
	v_add_co_ci_u32_e64 v10, null, s8, v12, vcc_lo
	s_clause 0x1
	global_load_dword v2, v[2:3], off
	global_load_dword v3, v[9:10], off
	ds_read2_b64 v[9:12], v21 offset1:1
	ds_read2_b64 v[13:16], v21 offset0:2 offset1:3
	ds_read2_b64 v[17:20], v21 offset0:4 offset1:5
	;; [unrolled: 1-line block ×3, first 2 shown]
	v_add_nc_u32_e32 v1, 0x200, v1
	s_waitcnt lgkmcnt(3)
	v_sub_f32_e32 v9, v9, v6
	v_sub_f32_e32 v11, v11, v6
	s_waitcnt lgkmcnt(2)
	v_sub_f32_e32 v13, v13, v6
	v_sub_f32_e32 v15, v15, v6
	s_waitcnt lgkmcnt(1)
	v_sub_f32_e32 v17, v17, v6
	v_mul_f32_e32 v31, 0x3fb8aa3b, v9
	v_mul_f32_e32 v32, 0x3fb8aa3b, v11
	;; [unrolled: 1-line block ×4, first 2 shown]
	v_sub_f32_e32 v19, v19, v6
	v_fma_f32 v39, 0x3fb8aa3b, v9, -v31
	v_rndne_f32_e32 v40, v31
	v_fma_f32 v41, 0x3fb8aa3b, v11, -v32
	v_rndne_f32_e32 v42, v32
	v_fma_f32 v43, 0x3fb8aa3b, v13, -v33
	v_fmac_f32_e32 v39, 0x32a5705f, v9
	v_sub_f32_e32 v31, v31, v40
	v_rndne_f32_e32 v44, v33
	v_fmac_f32_e32 v41, 0x32a5705f, v11
	v_sub_f32_e32 v32, v32, v42
	v_fmac_f32_e32 v43, 0x32a5705f, v13
	v_add_f32_e32 v31, v31, v39
	v_sub_f32_e32 v33, v33, v44
	v_mul_f32_e32 v35, 0x3fb8aa3b, v17
	v_add_f32_e32 v32, v32, v41
	v_fma_f32 v45, 0x3fb8aa3b, v15, -v34
	v_exp_f32_e32 v31, v31
	v_rndne_f32_e32 v46, v34
	v_add_f32_e32 v33, v33, v43
	v_cvt_i32_f32_e32 v40, v40
	v_exp_f32_e32 v32, v32
	s_waitcnt lgkmcnt(0)
	v_sub_f32_e32 v21, v21, v6
	v_mul_f32_e32 v36, 0x3fb8aa3b, v19
	v_fma_f32 v47, 0x3fb8aa3b, v17, -v35
	v_rndne_f32_e32 v48, v35
	v_cvt_i32_f32_e32 v42, v42
	v_fmac_f32_e32 v45, 0x32a5705f, v15
	v_sub_f32_e32 v34, v34, v46
	v_exp_f32_e32 v33, v33
	v_ldexp_f32 v31, v31, v40
	v_cmp_ngt_f32_e64 s5, 0xc2ce8ed0, v9
	v_sub_f32_e32 v23, v23, v6
	v_mul_f32_e32 v37, 0x3fb8aa3b, v21
	v_fma_f32 v49, 0x3fb8aa3b, v19, -v36
	v_rndne_f32_e32 v50, v36
	v_cvt_i32_f32_e32 v44, v44
	v_fmac_f32_e32 v47, 0x32a5705f, v17
	v_sub_f32_e32 v35, v35, v48
	v_add_f32_e32 v34, v34, v45
	v_ldexp_f32 v32, v32, v42
	v_cndmask_b32_e64 v31, 0, v31, s5
	v_cmp_ngt_f32_e64 s5, 0xc2ce8ed0, v11
	v_mul_f32_e32 v38, 0x3fb8aa3b, v23
	v_fma_f32 v51, 0x3fb8aa3b, v21, -v37
	v_rndne_f32_e32 v39, v37
	v_fmac_f32_e32 v49, 0x32a5705f, v19
	v_sub_f32_e32 v36, v36, v50
	v_add_f32_e32 v35, v35, v47
	v_exp_f32_e32 v34, v34
	v_ldexp_f32 v33, v33, v44
	v_cmp_ngt_f32_e32 vcc_lo, 0xc2ce8ed0, v13
	v_cndmask_b32_e64 v32, 0, v32, s5
	v_cmp_nlt_f32_e64 s5, 0x42b17218, v9
	v_fma_f32 v41, 0x3fb8aa3b, v23, -v38
	v_rndne_f32_e32 v43, v38
	v_cvt_i32_f32_e32 v46, v46
	v_fmac_f32_e32 v51, 0x32a5705f, v21
	v_sub_f32_e32 v37, v37, v39
	v_add_f32_e32 v36, v36, v49
	v_exp_f32_e32 v35, v35
	v_cndmask_b32_e64 v9, 0x7f800000, v31, s5
	v_cndmask_b32_e32 v31, 0, v33, vcc_lo
	v_cmp_nlt_f32_e32 vcc_lo, 0x42b17218, v11
	v_cvt_i32_f32_e32 v48, v48
	v_fmac_f32_e32 v41, 0x32a5705f, v23
	v_sub_f32_e32 v38, v38, v43
	v_add_f32_e32 v37, v37, v51
	v_exp_f32_e32 v36, v36
	v_ldexp_f32 v34, v34, v46
	v_cmp_ngt_f32_e64 s0, 0xc2ce8ed0, v15
	v_cndmask_b32_e32 v11, 0x7f800000, v32, vcc_lo
	v_fmac_f32_e32 v8, v9, v10
	v_cmp_nlt_f32_e32 vcc_lo, 0x42b17218, v13
	v_cvt_i32_f32_e32 v50, v50
	v_add_f32_e32 v38, v38, v41
	v_exp_f32_e32 v37, v37
	v_ldexp_f32 v35, v35, v48
	v_cmp_ngt_f32_e64 s1, 0xc2ce8ed0, v17
	v_cndmask_b32_e32 v10, 0x7f800000, v31, vcc_lo
	v_fmac_f32_e32 v8, v11, v12
	v_cmp_nlt_f32_e32 vcc_lo, 0x42b17218, v15
	v_cvt_i32_f32_e32 v39, v39
	v_exp_f32_e32 v38, v38
	v_ldexp_f32 v36, v36, v50
	v_cmp_ngt_f32_e64 s2, 0xc2ce8ed0, v19
	v_fmac_f32_e32 v8, v10, v14
	v_cvt_i32_f32_e32 v43, v43
	v_ldexp_f32 v37, v37, v39
	v_cmp_ngt_f32_e64 s3, 0xc2ce8ed0, v21
	v_cmp_ngt_f32_e64 s4, 0xc2ce8ed0, v23
	v_ldexp_f32 v38, v38, v43
	s_waitcnt vmcnt(7)
	v_fmac_f32_e32 v7, v25, v9
	v_cndmask_b32_e64 v9, 0, v34, s0
	s_waitcnt vmcnt(6)
	v_fmac_f32_e32 v7, v26, v11
	v_cndmask_b32_e64 v11, 0, v35, s1
	v_cndmask_b32_e32 v9, 0x7f800000, v9, vcc_lo
	v_cmp_nlt_f32_e32 vcc_lo, 0x42b17218, v17
	v_fmac_f32_e32 v8, v9, v16
	v_cndmask_b32_e32 v11, 0x7f800000, v11, vcc_lo
	v_cmp_nlt_f32_e32 vcc_lo, 0x42b17218, v19
	s_waitcnt vmcnt(5)
	v_fmac_f32_e32 v7, v27, v10
	v_cndmask_b32_e64 v10, 0, v36, s2
	v_fmac_f32_e32 v8, v11, v18
	s_waitcnt vmcnt(4)
	v_fmac_f32_e32 v7, v28, v9
	v_cndmask_b32_e64 v9, 0, v37, s3
	v_cndmask_b32_e32 v10, 0x7f800000, v10, vcc_lo
	v_cmp_nlt_f32_e32 vcc_lo, 0x42b17218, v21
	v_fmac_f32_e32 v8, v10, v20
	v_cndmask_b32_e32 v9, 0x7f800000, v9, vcc_lo
	v_cmp_nlt_f32_e32 vcc_lo, 0x42b17218, v23
	s_waitcnt vmcnt(3)
	v_fmac_f32_e32 v7, v29, v11
	v_cndmask_b32_e64 v11, 0, v38, s4
	v_fmac_f32_e32 v8, v9, v22
	s_waitcnt vmcnt(2)
	v_fmac_f32_e32 v7, v30, v10
	v_cndmask_b32_e32 v10, 0x7f800000, v11, vcc_lo
	s_waitcnt vmcnt(1)
	v_fmac_f32_e32 v7, v2, v9
	v_fmac_f32_e32 v8, v10, v24
	s_waitcnt vmcnt(0)
	v_fmac_f32_e32 v7, v3, v10
	s_cbranch_scc0 .LBB4_14
; %bb.15:
	s_and_b32 s0, s9, 7
	s_cmp_eq_u32 s0, 0
	s_cbranch_scc0 .LBB4_18
	s_branch .LBB4_20
.LBB4_16:
	v_mov_b32_e32 v0, 0x7fc00000
	s_branch .LBB4_21
.LBB4_17:
	v_mov_b32_e32 v7, 0
	v_mov_b32_e32 v8, 0
	s_mov_b32 s12, 0
	s_and_b32 s0, s9, 7
	s_cmp_eq_u32 s0, 0
	s_cbranch_scc1 .LBB4_20
.LBB4_18:
	v_lshl_or_b32 v0, s12, 6, v0
	v_mov_b32_e32 v1, 0
	s_lshl_b32 s1, s12, 3
	s_add_i32 s1, s1, 0
	s_inst_prefetch 0x1
	.p2align	6
.LBB4_19:                               ; =>This Inner Loop Header: Depth=1
	v_lshlrev_b64 v[2:3], 2, v[0:1]
	v_add_nc_u32_e32 v0, 64, v0
	s_add_i32 s0, s0, -1
	v_add_co_u32 v2, vcc_lo, s7, v2
	v_add_co_ci_u32_e64 v3, null, s8, v3, vcc_lo
	global_load_dword v4, v[2:3], off
	v_mov_b32_e32 v2, s1
	s_add_i32 s1, s1, 8
	s_cmp_lg_u32 s0, 0
	ds_read_b64 v[2:3], v2
	s_waitcnt lgkmcnt(0)
	v_sub_f32_e32 v2, v2, v6
	v_mul_f32_e32 v9, 0x3fb8aa3b, v2
	v_cmp_ngt_f32_e32 vcc_lo, 0xc2ce8ed0, v2
	v_fma_f32 v10, 0x3fb8aa3b, v2, -v9
	v_rndne_f32_e32 v11, v9
	v_fmac_f32_e32 v10, 0x32a5705f, v2
	v_sub_f32_e32 v9, v9, v11
	v_add_f32_e32 v9, v9, v10
	v_cvt_i32_f32_e32 v10, v11
	v_exp_f32_e32 v9, v9
	v_ldexp_f32 v9, v9, v10
	v_cndmask_b32_e32 v9, 0, v9, vcc_lo
	v_cmp_nlt_f32_e32 vcc_lo, 0x42b17218, v2
	v_cndmask_b32_e32 v2, 0x7f800000, v9, vcc_lo
	v_fmac_f32_e32 v8, v2, v3
	s_waitcnt vmcnt(0)
	v_fmac_f32_e32 v7, v4, v2
	s_cbranch_scc1 .LBB4_19
.LBB4_20:
	s_inst_prefetch 0x2
	v_div_scale_f32 v0, null, v8, v8, v7
	v_rcp_f32_e32 v1, v0
	v_fma_f32 v2, -v0, v1, 1.0
	v_fmac_f32_e32 v1, v2, v1
	v_div_scale_f32 v2, vcc_lo, v7, v8, v7
	v_mul_f32_e32 v3, v2, v1
	v_fma_f32 v4, -v0, v3, v2
	v_fmac_f32_e32 v3, v4, v1
	v_fma_f32 v0, -v0, v3, v2
	v_div_fmas_f32 v0, v0, v1, v3
	v_div_fixup_f32 v0, v0, v8, v7
.LBB4_21:
	s_lshl_b32 s0, s6, 6
	s_ashr_i32 s1, s0, 31
	s_lshl_b64 s[0:1], s[0:1], 2
	s_add_u32 s0, s10, s0
	s_addc_u32 s1, s11, s1
	global_store_dword v5, v0, s[0:1]
	s_endpgm
	.section	.rodata,"a",@progbits
	.p2align	6, 0x0
	.amdhsa_kernel _ZL26flash_attn_combine_resultsILi64EEvPKfPK15HIP_vector_typeIfLj2EEPfi
		.amdhsa_group_segment_fixed_size 0
		.amdhsa_private_segment_fixed_size 0
		.amdhsa_kernarg_size 288
		.amdhsa_user_sgpr_count 6
		.amdhsa_user_sgpr_private_segment_buffer 1
		.amdhsa_user_sgpr_dispatch_ptr 0
		.amdhsa_user_sgpr_queue_ptr 0
		.amdhsa_user_sgpr_kernarg_segment_ptr 1
		.amdhsa_user_sgpr_dispatch_id 0
		.amdhsa_user_sgpr_flat_scratch_init 0
		.amdhsa_user_sgpr_private_segment_size 0
		.amdhsa_wavefront_size32 1
		.amdhsa_uses_dynamic_stack 0
		.amdhsa_system_sgpr_private_segment_wavefront_offset 0
		.amdhsa_system_sgpr_workgroup_id_x 1
		.amdhsa_system_sgpr_workgroup_id_y 1
		.amdhsa_system_sgpr_workgroup_id_z 1
		.amdhsa_system_sgpr_workgroup_info 0
		.amdhsa_system_vgpr_workitem_id 0
		.amdhsa_next_free_vgpr 52
		.amdhsa_next_free_sgpr 18
		.amdhsa_reserve_vcc 1
		.amdhsa_reserve_flat_scratch 0
		.amdhsa_float_round_mode_32 0
		.amdhsa_float_round_mode_16_64 0
		.amdhsa_float_denorm_mode_32 3
		.amdhsa_float_denorm_mode_16_64 3
		.amdhsa_dx10_clamp 1
		.amdhsa_ieee_mode 1
		.amdhsa_fp16_overflow 0
		.amdhsa_workgroup_processor_mode 1
		.amdhsa_memory_ordered 1
		.amdhsa_forward_progress 1
		.amdhsa_shared_vgpr_count 0
		.amdhsa_exception_fp_ieee_invalid_op 0
		.amdhsa_exception_fp_denorm_src 0
		.amdhsa_exception_fp_ieee_div_zero 0
		.amdhsa_exception_fp_ieee_overflow 0
		.amdhsa_exception_fp_ieee_underflow 0
		.amdhsa_exception_fp_ieee_inexact 0
		.amdhsa_exception_int_div_zero 0
	.end_amdhsa_kernel
	.section	.text._ZL26flash_attn_combine_resultsILi64EEvPKfPK15HIP_vector_typeIfLj2EEPfi,"axG",@progbits,_ZL26flash_attn_combine_resultsILi64EEvPKfPK15HIP_vector_typeIfLj2EEPfi,comdat
.Lfunc_end4:
	.size	_ZL26flash_attn_combine_resultsILi64EEvPKfPK15HIP_vector_typeIfLj2EEPfi, .Lfunc_end4-_ZL26flash_attn_combine_resultsILi64EEvPKfPK15HIP_vector_typeIfLj2EEPfi
                                        ; -- End function
	.set _ZL26flash_attn_combine_resultsILi64EEvPKfPK15HIP_vector_typeIfLj2EEPfi.num_vgpr, 52
	.set _ZL26flash_attn_combine_resultsILi64EEvPKfPK15HIP_vector_typeIfLj2EEPfi.num_agpr, 0
	.set _ZL26flash_attn_combine_resultsILi64EEvPKfPK15HIP_vector_typeIfLj2EEPfi.numbered_sgpr, 18
	.set _ZL26flash_attn_combine_resultsILi64EEvPKfPK15HIP_vector_typeIfLj2EEPfi.num_named_barrier, 0
	.set _ZL26flash_attn_combine_resultsILi64EEvPKfPK15HIP_vector_typeIfLj2EEPfi.private_seg_size, 0
	.set _ZL26flash_attn_combine_resultsILi64EEvPKfPK15HIP_vector_typeIfLj2EEPfi.uses_vcc, 1
	.set _ZL26flash_attn_combine_resultsILi64EEvPKfPK15HIP_vector_typeIfLj2EEPfi.uses_flat_scratch, 0
	.set _ZL26flash_attn_combine_resultsILi64EEvPKfPK15HIP_vector_typeIfLj2EEPfi.has_dyn_sized_stack, 0
	.set _ZL26flash_attn_combine_resultsILi64EEvPKfPK15HIP_vector_typeIfLj2EEPfi.has_recursion, 0
	.set _ZL26flash_attn_combine_resultsILi64EEvPKfPK15HIP_vector_typeIfLj2EEPfi.has_indirect_call, 0
	.section	.AMDGPU.csdata,"",@progbits
; Kernel info:
; codeLenInByte = 2260
; TotalNumSgprs: 20
; NumVgprs: 52
; ScratchSize: 0
; MemoryBound: 0
; FloatMode: 240
; IeeeMode: 1
; LDSByteSize: 0 bytes/workgroup (compile time only)
; SGPRBlocks: 0
; VGPRBlocks: 6
; NumSGPRsForWavesPerEU: 20
; NumVGPRsForWavesPerEU: 52
; Occupancy: 16
; WaveLimiterHint : 0
; COMPUTE_PGM_RSRC2:SCRATCH_EN: 0
; COMPUTE_PGM_RSRC2:USER_SGPR: 6
; COMPUTE_PGM_RSRC2:TRAP_HANDLER: 0
; COMPUTE_PGM_RSRC2:TGID_X_EN: 1
; COMPUTE_PGM_RSRC2:TGID_Y_EN: 1
; COMPUTE_PGM_RSRC2:TGID_Z_EN: 1
; COMPUTE_PGM_RSRC2:TIDIG_COMP_CNT: 0
	.text
	.p2align	2                               ; -- Begin function __ockl_printf_append_string_n
	.type	__ockl_printf_append_string_n,@function
__ockl_printf_append_string_n:          ; @__ockl_printf_append_string_n
; %bb.0:
	s_waitcnt vmcnt(0) expcnt(0) lgkmcnt(0)
	v_mov_b32_e32 v3, v0
	v_mbcnt_lo_u32_b32 v36, -1, 0
	s_getpc_b64 s[4:5]
	s_add_u32 s4, s4, __FUNCTION__._ZL18flash_attn_ext_vecILi64ELi1EL9ggml_type7ELS0_8ELb1EEvPKcS2_S2_S2_S2_PKiPfP15HIP_vector_typeIfLj2EEffffjfiS6_IjLj3EEiiiiiiiiiiiliiliiiiil@rel32@lo+4
	s_addc_u32 s5, s5, __FUNCTION__._ZL18flash_attn_ext_vecILi64ELi1EL9ggml_type7ELS0_8ELb1EEvPKcS2_S2_S2_S2_PKiPfP15HIP_vector_typeIfLj2EEffffjfiS6_IjLj3EEiiiiiiiiiiiliiliiiiil@rel32@hi+12
	s_cmp_lg_u64 s[4:5], 0
	s_cbranch_scc0 .LBB5_87
; %bb.1:
	s_load_dwordx2 s[6:7], s[8:9], 0x50
	v_and_b32_e32 v0, -3, v3
	s_getpc_b64 s[4:5]
	s_add_u32 s4, s4, __FUNCTION__._ZL18flash_attn_ext_vecILi64ELi1EL9ggml_type7ELS0_8ELb1EEvPKcS2_S2_S2_S2_PKiPfP15HIP_vector_typeIfLj2EEffffjfiS6_IjLj3EEiiiiiiiiiiiliiliiiiil@rel32@lo+4
	s_addc_u32 s5, s5, __FUNCTION__._ZL18flash_attn_ext_vecILi64ELi1EL9ggml_type7ELS0_8ELb1EEvPKcS2_S2_S2_S2_PKiPfP15HIP_vector_typeIfLj2EEffffjfiS6_IjLj3EEiiiiiiiiiiiliiliiiiil@rel32@hi+12
	v_mov_b32_e32 v7, v1
	v_mov_b32_e32 v31, s5
	v_and_b32_e32 v2, 2, v3
	v_mov_b32_e32 v11, 0
	v_mov_b32_e32 v30, s4
	;; [unrolled: 1-line block ×5, first 2 shown]
	s_mov_b32 s15, 0
	s_mov_b32 s14, 0
	s_branch .LBB5_3
.LBB5_2:                                ;   in Loop: Header=BB5_3 Depth=1
	s_or_b32 exec_lo, exec_lo, s12
	v_sub_co_u32 v4, vcc_lo, v4, v32
	v_sub_co_ci_u32_e64 v5, null, v5, v33, vcc_lo
	v_add_co_u32 v30, s4, v30, v32
	v_add_co_ci_u32_e64 v31, null, v31, v33, s4
	v_cmp_eq_u64_e32 vcc_lo, 0, v[4:5]
	s_or_b32 s14, vcc_lo, s14
	s_andn2_b32 exec_lo, exec_lo, s14
	s_cbranch_execz .LBB5_85
.LBB5_3:                                ; =>This Loop Header: Depth=1
                                        ;     Child Loop BB5_6 Depth 2
                                        ;     Child Loop BB5_14 Depth 2
	;; [unrolled: 1-line block ×11, first 2 shown]
	v_cmp_gt_u64_e32 vcc_lo, 56, v[4:5]
	s_mov_b32 s5, exec_lo
	v_cndmask_b32_e32 v33, 0, v5, vcc_lo
	v_cndmask_b32_e32 v32, 56, v4, vcc_lo
	v_add_co_u32 v16, vcc_lo, v30, 8
	v_add_co_ci_u32_e64 v17, null, 0, v31, vcc_lo
	v_cmpx_gt_u64_e32 8, v[4:5]
	s_xor_b32 s5, exec_lo, s5
	s_cbranch_execz .LBB5_9
; %bb.4:                                ;   in Loop: Header=BB5_3 Depth=1
	v_mov_b32_e32 v8, 0
	v_mov_b32_e32 v9, 0
	s_mov_b32 s12, exec_lo
	v_cmpx_ne_u64_e32 0, v[4:5]
	s_cbranch_execz .LBB5_8
; %bb.5:                                ;   in Loop: Header=BB5_3 Depth=1
	v_lshlrev_b64 v[14:15], 3, v[32:33]
	v_mov_b32_e32 v8, 0
	v_mov_b32_e32 v15, v30
	;; [unrolled: 1-line block ×4, first 2 shown]
	s_mov_b64 s[10:11], 0
	s_mov_b32 s13, 0
	.p2align	6
.LBB5_6:                                ;   Parent Loop BB5_3 Depth=1
                                        ; =>  This Inner Loop Header: Depth=2
	global_load_ubyte v0, v[15:16], off
	v_mov_b32_e32 v18, s15
	v_add_co_u32 v15, vcc_lo, v15, 1
	v_add_co_ci_u32_e64 v16, null, 0, v16, vcc_lo
	s_waitcnt vmcnt(0)
	v_and_b32_e32 v17, 0xffff, v0
	v_lshlrev_b64 v[17:18], s10, v[17:18]
	s_add_u32 s10, s10, 8
	s_addc_u32 s11, s11, 0
	v_cmp_eq_u32_e64 s4, s10, v14
	v_or_b32_e32 v9, v18, v9
	v_or_b32_e32 v8, v17, v8
	s_or_b32 s13, s4, s13
	s_andn2_b32 exec_lo, exec_lo, s13
	s_cbranch_execnz .LBB5_6
; %bb.7:                                ;   in Loop: Header=BB5_3 Depth=1
	s_or_b32 exec_lo, exec_lo, s13
.LBB5_8:                                ;   in Loop: Header=BB5_3 Depth=1
	s_or_b32 exec_lo, exec_lo, s12
	v_mov_b32_e32 v16, v30
	v_mov_b32_e32 v17, v31
.LBB5_9:                                ;   in Loop: Header=BB5_3 Depth=1
	s_or_saveexec_b32 s4, s5
	v_mov_b32_e32 v0, 0
	s_xor_b32 exec_lo, exec_lo, s4
	s_cbranch_execz .LBB5_11
; %bb.10:                               ;   in Loop: Header=BB5_3 Depth=1
	global_load_dwordx2 v[8:9], v[30:31], off
	v_add_nc_u32_e32 v0, -8, v32
.LBB5_11:                               ;   in Loop: Header=BB5_3 Depth=1
	s_or_b32 exec_lo, exec_lo, s4
	v_add_co_u32 v18, s4, v16, 8
	v_add_co_ci_u32_e64 v19, null, 0, v17, s4
                                        ; implicit-def: $vgpr14_vgpr15
	s_mov_b32 s4, exec_lo
	v_cmpx_gt_u32_e32 8, v0
	s_xor_b32 s12, exec_lo, s4
	s_cbranch_execz .LBB5_17
; %bb.12:                               ;   in Loop: Header=BB5_3 Depth=1
	v_mov_b32_e32 v14, 0
	v_mov_b32_e32 v15, 0
	s_mov_b32 s13, exec_lo
	v_cmpx_ne_u32_e32 0, v0
	s_cbranch_execz .LBB5_16
; %bb.13:                               ;   in Loop: Header=BB5_3 Depth=1
	v_mov_b32_e32 v14, 0
	v_mov_b32_e32 v15, 0
	s_mov_b64 s[4:5], 0
	s_mov_b32 s16, 0
	s_mov_b64 s[10:11], 0
	.p2align	6
.LBB5_14:                               ;   Parent Loop BB5_3 Depth=1
                                        ; =>  This Inner Loop Header: Depth=2
	v_add_co_u32 v18, vcc_lo, v16, s10
	v_add_co_ci_u32_e64 v19, null, s11, v17, vcc_lo
	s_add_u32 s10, s10, 1
	s_addc_u32 s11, s11, 0
	v_cmp_eq_u32_e32 vcc_lo, s10, v0
	global_load_ubyte v10, v[18:19], off
	v_mov_b32_e32 v19, s15
	s_waitcnt vmcnt(0)
	v_and_b32_e32 v18, 0xffff, v10
	v_lshlrev_b64 v[18:19], s4, v[18:19]
	s_add_u32 s4, s4, 8
	s_addc_u32 s5, s5, 0
	s_or_b32 s16, vcc_lo, s16
	v_or_b32_e32 v15, v19, v15
	v_or_b32_e32 v14, v18, v14
	s_andn2_b32 exec_lo, exec_lo, s16
	s_cbranch_execnz .LBB5_14
; %bb.15:                               ;   in Loop: Header=BB5_3 Depth=1
	s_or_b32 exec_lo, exec_lo, s16
.LBB5_16:                               ;   in Loop: Header=BB5_3 Depth=1
	s_or_b32 exec_lo, exec_lo, s13
	v_mov_b32_e32 v19, v17
	v_mov_b32_e32 v18, v16
                                        ; implicit-def: $vgpr0
.LBB5_17:                               ;   in Loop: Header=BB5_3 Depth=1
	s_or_saveexec_b32 s4, s12
	v_mov_b32_e32 v10, 0
	s_xor_b32 exec_lo, exec_lo, s4
	s_cbranch_execz .LBB5_19
; %bb.18:                               ;   in Loop: Header=BB5_3 Depth=1
	global_load_dwordx2 v[14:15], v[16:17], off
	v_add_nc_u32_e32 v10, -8, v0
.LBB5_19:                               ;   in Loop: Header=BB5_3 Depth=1
	s_or_b32 exec_lo, exec_lo, s4
	v_add_co_u32 v20, s4, v18, 8
	v_add_co_ci_u32_e64 v21, null, 0, v19, s4
	s_mov_b32 s4, exec_lo
	v_cmpx_gt_u32_e32 8, v10
	s_xor_b32 s12, exec_lo, s4
	s_cbranch_execz .LBB5_25
; %bb.20:                               ;   in Loop: Header=BB5_3 Depth=1
	v_mov_b32_e32 v16, 0
	v_mov_b32_e32 v17, 0
	s_mov_b32 s13, exec_lo
	v_cmpx_ne_u32_e32 0, v10
	s_cbranch_execz .LBB5_24
; %bb.21:                               ;   in Loop: Header=BB5_3 Depth=1
	v_mov_b32_e32 v16, 0
	v_mov_b32_e32 v17, 0
	s_mov_b64 s[4:5], 0
	s_mov_b32 s16, 0
	s_mov_b64 s[10:11], 0
	.p2align	6
.LBB5_22:                               ;   Parent Loop BB5_3 Depth=1
                                        ; =>  This Inner Loop Header: Depth=2
	v_add_co_u32 v20, vcc_lo, v18, s10
	v_add_co_ci_u32_e64 v21, null, s11, v19, vcc_lo
	s_add_u32 s10, s10, 1
	s_addc_u32 s11, s11, 0
	v_cmp_eq_u32_e32 vcc_lo, s10, v10
	global_load_ubyte v0, v[20:21], off
	v_mov_b32_e32 v21, s15
	s_waitcnt vmcnt(0)
	v_and_b32_e32 v20, 0xffff, v0
	v_lshlrev_b64 v[20:21], s4, v[20:21]
	s_add_u32 s4, s4, 8
	s_addc_u32 s5, s5, 0
	s_or_b32 s16, vcc_lo, s16
	v_or_b32_e32 v17, v21, v17
	v_or_b32_e32 v16, v20, v16
	s_andn2_b32 exec_lo, exec_lo, s16
	s_cbranch_execnz .LBB5_22
; %bb.23:                               ;   in Loop: Header=BB5_3 Depth=1
	s_or_b32 exec_lo, exec_lo, s16
.LBB5_24:                               ;   in Loop: Header=BB5_3 Depth=1
	s_or_b32 exec_lo, exec_lo, s13
	v_mov_b32_e32 v21, v19
	v_mov_b32_e32 v20, v18
                                        ; implicit-def: $vgpr10
.LBB5_25:                               ;   in Loop: Header=BB5_3 Depth=1
	s_or_saveexec_b32 s4, s12
	v_mov_b32_e32 v0, 0
	s_xor_b32 exec_lo, exec_lo, s4
	s_cbranch_execz .LBB5_27
; %bb.26:                               ;   in Loop: Header=BB5_3 Depth=1
	global_load_dwordx2 v[16:17], v[18:19], off
	v_add_nc_u32_e32 v0, -8, v10
.LBB5_27:                               ;   in Loop: Header=BB5_3 Depth=1
	s_or_b32 exec_lo, exec_lo, s4
	v_add_co_u32 v22, s4, v20, 8
	v_add_co_ci_u32_e64 v23, null, 0, v21, s4
                                        ; implicit-def: $vgpr18_vgpr19
	s_mov_b32 s4, exec_lo
	v_cmpx_gt_u32_e32 8, v0
	s_xor_b32 s12, exec_lo, s4
	s_cbranch_execz .LBB5_33
; %bb.28:                               ;   in Loop: Header=BB5_3 Depth=1
	v_mov_b32_e32 v18, 0
	v_mov_b32_e32 v19, 0
	s_mov_b32 s13, exec_lo
	v_cmpx_ne_u32_e32 0, v0
	s_cbranch_execz .LBB5_32
; %bb.29:                               ;   in Loop: Header=BB5_3 Depth=1
	v_mov_b32_e32 v18, 0
	v_mov_b32_e32 v19, 0
	s_mov_b64 s[4:5], 0
	s_mov_b32 s16, 0
	s_mov_b64 s[10:11], 0
	.p2align	6
.LBB5_30:                               ;   Parent Loop BB5_3 Depth=1
                                        ; =>  This Inner Loop Header: Depth=2
	v_add_co_u32 v22, vcc_lo, v20, s10
	v_add_co_ci_u32_e64 v23, null, s11, v21, vcc_lo
	s_add_u32 s10, s10, 1
	s_addc_u32 s11, s11, 0
	v_cmp_eq_u32_e32 vcc_lo, s10, v0
	global_load_ubyte v10, v[22:23], off
	v_mov_b32_e32 v23, s15
	s_waitcnt vmcnt(0)
	v_and_b32_e32 v22, 0xffff, v10
	v_lshlrev_b64 v[22:23], s4, v[22:23]
	s_add_u32 s4, s4, 8
	s_addc_u32 s5, s5, 0
	s_or_b32 s16, vcc_lo, s16
	v_or_b32_e32 v19, v23, v19
	v_or_b32_e32 v18, v22, v18
	s_andn2_b32 exec_lo, exec_lo, s16
	s_cbranch_execnz .LBB5_30
; %bb.31:                               ;   in Loop: Header=BB5_3 Depth=1
	s_or_b32 exec_lo, exec_lo, s16
.LBB5_32:                               ;   in Loop: Header=BB5_3 Depth=1
	s_or_b32 exec_lo, exec_lo, s13
	v_mov_b32_e32 v23, v21
	v_mov_b32_e32 v22, v20
                                        ; implicit-def: $vgpr0
.LBB5_33:                               ;   in Loop: Header=BB5_3 Depth=1
	s_or_saveexec_b32 s4, s12
	v_mov_b32_e32 v10, 0
	s_xor_b32 exec_lo, exec_lo, s4
	s_cbranch_execz .LBB5_35
; %bb.34:                               ;   in Loop: Header=BB5_3 Depth=1
	global_load_dwordx2 v[18:19], v[20:21], off
	v_add_nc_u32_e32 v10, -8, v0
.LBB5_35:                               ;   in Loop: Header=BB5_3 Depth=1
	s_or_b32 exec_lo, exec_lo, s4
	v_add_co_u32 v24, s4, v22, 8
	v_add_co_ci_u32_e64 v25, null, 0, v23, s4
	s_mov_b32 s4, exec_lo
	v_cmpx_gt_u32_e32 8, v10
	s_xor_b32 s12, exec_lo, s4
	s_cbranch_execz .LBB5_41
; %bb.36:                               ;   in Loop: Header=BB5_3 Depth=1
	v_mov_b32_e32 v20, 0
	v_mov_b32_e32 v21, 0
	s_mov_b32 s13, exec_lo
	v_cmpx_ne_u32_e32 0, v10
	s_cbranch_execz .LBB5_40
; %bb.37:                               ;   in Loop: Header=BB5_3 Depth=1
	v_mov_b32_e32 v20, 0
	v_mov_b32_e32 v21, 0
	s_mov_b64 s[4:5], 0
	s_mov_b32 s16, 0
	s_mov_b64 s[10:11], 0
	.p2align	6
.LBB5_38:                               ;   Parent Loop BB5_3 Depth=1
                                        ; =>  This Inner Loop Header: Depth=2
	v_add_co_u32 v24, vcc_lo, v22, s10
	v_add_co_ci_u32_e64 v25, null, s11, v23, vcc_lo
	s_add_u32 s10, s10, 1
	s_addc_u32 s11, s11, 0
	v_cmp_eq_u32_e32 vcc_lo, s10, v10
	global_load_ubyte v0, v[24:25], off
	v_mov_b32_e32 v25, s15
	s_waitcnt vmcnt(0)
	v_and_b32_e32 v24, 0xffff, v0
	v_lshlrev_b64 v[24:25], s4, v[24:25]
	s_add_u32 s4, s4, 8
	s_addc_u32 s5, s5, 0
	s_or_b32 s16, vcc_lo, s16
	v_or_b32_e32 v21, v25, v21
	v_or_b32_e32 v20, v24, v20
	s_andn2_b32 exec_lo, exec_lo, s16
	s_cbranch_execnz .LBB5_38
; %bb.39:                               ;   in Loop: Header=BB5_3 Depth=1
	s_or_b32 exec_lo, exec_lo, s16
.LBB5_40:                               ;   in Loop: Header=BB5_3 Depth=1
	s_or_b32 exec_lo, exec_lo, s13
	v_mov_b32_e32 v25, v23
	v_mov_b32_e32 v24, v22
                                        ; implicit-def: $vgpr10
.LBB5_41:                               ;   in Loop: Header=BB5_3 Depth=1
	s_or_saveexec_b32 s4, s12
	v_mov_b32_e32 v0, 0
	s_xor_b32 exec_lo, exec_lo, s4
	s_cbranch_execz .LBB5_43
; %bb.42:                               ;   in Loop: Header=BB5_3 Depth=1
	global_load_dwordx2 v[20:21], v[22:23], off
	v_add_nc_u32_e32 v0, -8, v10
.LBB5_43:                               ;   in Loop: Header=BB5_3 Depth=1
	s_or_b32 exec_lo, exec_lo, s4
	v_add_co_u32 v26, s4, v24, 8
	v_add_co_ci_u32_e64 v27, null, 0, v25, s4
                                        ; implicit-def: $vgpr22_vgpr23
	s_mov_b32 s4, exec_lo
	v_cmpx_gt_u32_e32 8, v0
	s_xor_b32 s12, exec_lo, s4
	s_cbranch_execz .LBB5_49
; %bb.44:                               ;   in Loop: Header=BB5_3 Depth=1
	v_mov_b32_e32 v22, 0
	v_mov_b32_e32 v23, 0
	s_mov_b32 s13, exec_lo
	v_cmpx_ne_u32_e32 0, v0
	s_cbranch_execz .LBB5_48
; %bb.45:                               ;   in Loop: Header=BB5_3 Depth=1
	v_mov_b32_e32 v22, 0
	v_mov_b32_e32 v23, 0
	s_mov_b64 s[4:5], 0
	s_mov_b32 s16, 0
	s_mov_b64 s[10:11], 0
	.p2align	6
.LBB5_46:                               ;   Parent Loop BB5_3 Depth=1
                                        ; =>  This Inner Loop Header: Depth=2
	v_add_co_u32 v26, vcc_lo, v24, s10
	v_add_co_ci_u32_e64 v27, null, s11, v25, vcc_lo
	s_add_u32 s10, s10, 1
	s_addc_u32 s11, s11, 0
	v_cmp_eq_u32_e32 vcc_lo, s10, v0
	global_load_ubyte v10, v[26:27], off
	v_mov_b32_e32 v27, s15
	s_waitcnt vmcnt(0)
	v_and_b32_e32 v26, 0xffff, v10
	v_lshlrev_b64 v[26:27], s4, v[26:27]
	s_add_u32 s4, s4, 8
	s_addc_u32 s5, s5, 0
	s_or_b32 s16, vcc_lo, s16
	v_or_b32_e32 v23, v27, v23
	v_or_b32_e32 v22, v26, v22
	s_andn2_b32 exec_lo, exec_lo, s16
	s_cbranch_execnz .LBB5_46
; %bb.47:                               ;   in Loop: Header=BB5_3 Depth=1
	s_or_b32 exec_lo, exec_lo, s16
.LBB5_48:                               ;   in Loop: Header=BB5_3 Depth=1
	s_or_b32 exec_lo, exec_lo, s13
	v_mov_b32_e32 v27, v25
	v_mov_b32_e32 v26, v24
                                        ; implicit-def: $vgpr0
.LBB5_49:                               ;   in Loop: Header=BB5_3 Depth=1
	s_or_saveexec_b32 s4, s12
	v_mov_b32_e32 v10, 0
	s_xor_b32 exec_lo, exec_lo, s4
	s_cbranch_execz .LBB5_51
; %bb.50:                               ;   in Loop: Header=BB5_3 Depth=1
	global_load_dwordx2 v[22:23], v[24:25], off
	v_add_nc_u32_e32 v10, -8, v0
.LBB5_51:                               ;   in Loop: Header=BB5_3 Depth=1
	s_or_b32 exec_lo, exec_lo, s4
	s_mov_b32 s4, exec_lo
	v_cmpx_gt_u32_e32 8, v10
	s_xor_b32 s10, exec_lo, s4
	s_cbranch_execz .LBB5_57
; %bb.52:                               ;   in Loop: Header=BB5_3 Depth=1
	v_mov_b32_e32 v24, 0
	v_mov_b32_e32 v25, 0
	s_mov_b32 s11, exec_lo
	v_cmpx_ne_u32_e32 0, v10
	s_cbranch_execz .LBB5_56
; %bb.53:                               ;   in Loop: Header=BB5_3 Depth=1
	v_mov_b32_e32 v24, 0
	v_mov_b32_e32 v25, 0
	s_mov_b64 s[4:5], 0
	s_mov_b32 s12, 0
	.p2align	6
.LBB5_54:                               ;   Parent Loop BB5_3 Depth=1
                                        ; =>  This Inner Loop Header: Depth=2
	global_load_ubyte v0, v[26:27], off
	v_mov_b32_e32 v29, s15
	v_add_nc_u32_e32 v10, -1, v10
	v_add_co_u32 v26, vcc_lo, v26, 1
	v_add_co_ci_u32_e64 v27, null, 0, v27, vcc_lo
	v_cmp_eq_u32_e32 vcc_lo, 0, v10
	s_waitcnt vmcnt(0)
	v_and_b32_e32 v28, 0xffff, v0
	v_lshlrev_b64 v[28:29], s4, v[28:29]
	s_add_u32 s4, s4, 8
	s_addc_u32 s5, s5, 0
	s_or_b32 s12, vcc_lo, s12
	v_or_b32_e32 v25, v29, v25
	v_or_b32_e32 v24, v28, v24
	s_andn2_b32 exec_lo, exec_lo, s12
	s_cbranch_execnz .LBB5_54
; %bb.55:                               ;   in Loop: Header=BB5_3 Depth=1
	s_or_b32 exec_lo, exec_lo, s12
.LBB5_56:                               ;   in Loop: Header=BB5_3 Depth=1
	s_or_b32 exec_lo, exec_lo, s11
                                        ; implicit-def: $vgpr26_vgpr27
.LBB5_57:                               ;   in Loop: Header=BB5_3 Depth=1
	s_andn2_saveexec_b32 s4, s10
	s_cbranch_execz .LBB5_59
; %bb.58:                               ;   in Loop: Header=BB5_3 Depth=1
	global_load_dwordx2 v[24:25], v[26:27], off
.LBB5_59:                               ;   in Loop: Header=BB5_3 Depth=1
	s_or_b32 exec_lo, exec_lo, s4
	v_readfirstlane_b32 s4, v36
	v_mov_b32_e32 v34, 0
	v_mov_b32_e32 v35, 0
	v_cmp_eq_u32_e64 s4, s4, v36
	s_and_saveexec_b32 s5, s4
	s_cbranch_execz .LBB5_65
; %bb.60:                               ;   in Loop: Header=BB5_3 Depth=1
	s_waitcnt lgkmcnt(0)
	global_load_dwordx2 v[28:29], v11, s[6:7] offset:24 glc dlc
	s_waitcnt vmcnt(0)
	buffer_gl1_inv
	buffer_gl0_inv
	s_clause 0x1
	global_load_dwordx2 v[26:27], v11, s[6:7] offset:40
	global_load_dwordx2 v[34:35], v11, s[6:7]
	s_mov_b32 s10, exec_lo
	s_waitcnt vmcnt(1)
	v_and_b32_e32 v0, v27, v29
	v_and_b32_e32 v10, v26, v28
	v_mul_lo_u32 v0, v0, 24
	v_mul_hi_u32 v26, v10, 24
	v_mul_lo_u32 v10, v10, 24
	v_add_nc_u32_e32 v0, v26, v0
	s_waitcnt vmcnt(0)
	v_add_co_u32 v26, vcc_lo, v34, v10
	v_add_co_ci_u32_e64 v27, null, v35, v0, vcc_lo
	global_load_dwordx2 v[26:27], v[26:27], off glc dlc
	s_waitcnt vmcnt(0)
	global_atomic_cmpswap_x2 v[34:35], v11, v[26:29], s[6:7] offset:24 glc
	s_waitcnt vmcnt(0)
	buffer_gl1_inv
	buffer_gl0_inv
	v_cmpx_ne_u64_e64 v[34:35], v[28:29]
	s_cbranch_execz .LBB5_64
; %bb.61:                               ;   in Loop: Header=BB5_3 Depth=1
	s_mov_b32 s11, 0
	.p2align	6
.LBB5_62:                               ;   Parent Loop BB5_3 Depth=1
                                        ; =>  This Inner Loop Header: Depth=2
	s_sleep 1
	s_clause 0x1
	global_load_dwordx2 v[26:27], v11, s[6:7] offset:40
	global_load_dwordx2 v[37:38], v11, s[6:7]
	v_mov_b32_e32 v28, v34
	v_mov_b32_e32 v29, v35
	s_waitcnt vmcnt(1)
	v_and_b32_e32 v0, v26, v28
	v_and_b32_e32 v10, v27, v29
	s_waitcnt vmcnt(0)
	v_mad_u64_u32 v[34:35], null, v0, 24, v[37:38]
	v_mov_b32_e32 v0, v35
	v_mad_u64_u32 v[26:27], null, v10, 24, v[0:1]
	v_mov_b32_e32 v35, v26
	global_load_dwordx2 v[26:27], v[34:35], off glc dlc
	s_waitcnt vmcnt(0)
	global_atomic_cmpswap_x2 v[34:35], v11, v[26:29], s[6:7] offset:24 glc
	s_waitcnt vmcnt(0)
	buffer_gl1_inv
	buffer_gl0_inv
	v_cmp_eq_u64_e32 vcc_lo, v[34:35], v[28:29]
	s_or_b32 s11, vcc_lo, s11
	s_andn2_b32 exec_lo, exec_lo, s11
	s_cbranch_execnz .LBB5_62
; %bb.63:                               ;   in Loop: Header=BB5_3 Depth=1
	s_or_b32 exec_lo, exec_lo, s11
.LBB5_64:                               ;   in Loop: Header=BB5_3 Depth=1
	s_or_b32 exec_lo, exec_lo, s10
.LBB5_65:                               ;   in Loop: Header=BB5_3 Depth=1
	s_or_b32 exec_lo, exec_lo, s5
	s_waitcnt lgkmcnt(0)
	s_clause 0x1
	global_load_dwordx2 v[37:38], v11, s[6:7] offset:40
	global_load_dwordx4 v[26:29], v11, s[6:7]
	v_readfirstlane_b32 s11, v35
	v_readfirstlane_b32 s10, v34
	s_mov_b32 s5, exec_lo
	s_waitcnt vmcnt(1)
	v_readfirstlane_b32 s12, v37
	v_readfirstlane_b32 s13, v38
	s_and_b64 s[12:13], s[12:13], s[10:11]
	s_mul_i32 s16, s13, 24
	s_mul_hi_u32 s17, s12, 24
	s_mul_i32 s18, s12, 24
	s_add_i32 s17, s17, s16
	s_waitcnt vmcnt(0)
	v_add_co_u32 v34, vcc_lo, v26, s18
	v_add_co_ci_u32_e64 v35, null, s17, v27, vcc_lo
	s_and_saveexec_b32 s16, s4
	s_cbranch_execz .LBB5_67
; %bb.66:                               ;   in Loop: Header=BB5_3 Depth=1
	v_mov_b32_e32 v10, s5
	global_store_dwordx4 v[34:35], v[10:13], off offset:8
.LBB5_67:                               ;   in Loop: Header=BB5_3 Depth=1
	s_or_b32 exec_lo, exec_lo, s16
	v_cmp_gt_u64_e32 vcc_lo, 57, v[4:5]
	s_lshl_b64 s[12:13], s[12:13], 12
	v_and_b32_e32 v6, 0xffffff1f, v6
	v_lshl_add_u32 v37, v32, 2, 28
	v_cndmask_b32_e32 v10, 0, v2, vcc_lo
	v_add_co_u32 v0, vcc_lo, v28, s12
	v_add_co_ci_u32_e64 v28, null, s13, v29, vcc_lo
	v_or_b32_e32 v6, v6, v10
	v_lshlrev_b32_e32 v29, 6, v36
	v_readfirstlane_b32 s12, v0
	v_readfirstlane_b32 s13, v28
	v_and_or_b32 v6, 0x1e0, v37, v6
	global_store_dwordx4 v29, v[14:17], s[12:13] offset:16
	global_store_dwordx4 v29, v[6:9], s[12:13]
	global_store_dwordx4 v29, v[18:21], s[12:13] offset:32
	global_store_dwordx4 v29, v[22:25], s[12:13] offset:48
	s_and_saveexec_b32 s5, s4
	s_cbranch_execz .LBB5_75
; %bb.68:                               ;   in Loop: Header=BB5_3 Depth=1
	s_clause 0x1
	global_load_dwordx2 v[18:19], v11, s[6:7] offset:32 glc dlc
	global_load_dwordx2 v[6:7], v11, s[6:7] offset:40
	v_mov_b32_e32 v16, s10
	v_mov_b32_e32 v17, s11
	s_waitcnt vmcnt(0)
	v_readfirstlane_b32 s12, v6
	v_readfirstlane_b32 s13, v7
	s_and_b64 s[12:13], s[12:13], s[10:11]
	s_mul_i32 s13, s13, 24
	s_mul_hi_u32 s16, s12, 24
	s_mul_i32 s12, s12, 24
	s_add_i32 s16, s16, s13
	v_add_co_u32 v14, vcc_lo, v26, s12
	v_add_co_ci_u32_e64 v15, null, s16, v27, vcc_lo
	s_mov_b32 s12, exec_lo
	global_store_dwordx2 v[14:15], v[18:19], off
	s_waitcnt_vscnt null, 0x0
	global_atomic_cmpswap_x2 v[8:9], v11, v[16:19], s[6:7] offset:32 glc
	s_waitcnt vmcnt(0)
	v_cmpx_ne_u64_e64 v[8:9], v[18:19]
	s_cbranch_execz .LBB5_71
; %bb.69:                               ;   in Loop: Header=BB5_3 Depth=1
	s_mov_b32 s13, 0
.LBB5_70:                               ;   Parent Loop BB5_3 Depth=1
                                        ; =>  This Inner Loop Header: Depth=2
	v_mov_b32_e32 v6, s10
	v_mov_b32_e32 v7, s11
	s_sleep 1
	global_store_dwordx2 v[14:15], v[8:9], off
	s_waitcnt_vscnt null, 0x0
	global_atomic_cmpswap_x2 v[6:7], v11, v[6:9], s[6:7] offset:32 glc
	s_waitcnt vmcnt(0)
	v_cmp_eq_u64_e32 vcc_lo, v[6:7], v[8:9]
	v_mov_b32_e32 v9, v7
	v_mov_b32_e32 v8, v6
	s_or_b32 s13, vcc_lo, s13
	s_andn2_b32 exec_lo, exec_lo, s13
	s_cbranch_execnz .LBB5_70
.LBB5_71:                               ;   in Loop: Header=BB5_3 Depth=1
	s_or_b32 exec_lo, exec_lo, s12
	global_load_dwordx2 v[6:7], v11, s[6:7] offset:16
	s_mov_b32 s13, exec_lo
	s_mov_b32 s12, exec_lo
	v_mbcnt_lo_u32_b32 v8, s13, 0
	v_cmpx_eq_u32_e32 0, v8
	s_cbranch_execz .LBB5_73
; %bb.72:                               ;   in Loop: Header=BB5_3 Depth=1
	s_bcnt1_i32_b32 s13, s13
	v_mov_b32_e32 v10, s13
	s_waitcnt vmcnt(0)
	global_atomic_add_x2 v[6:7], v[10:11], off offset:8
.LBB5_73:                               ;   in Loop: Header=BB5_3 Depth=1
	s_or_b32 exec_lo, exec_lo, s12
	s_waitcnt vmcnt(0)
	global_load_dwordx2 v[8:9], v[6:7], off offset:16
	s_waitcnt vmcnt(0)
	v_cmp_eq_u64_e32 vcc_lo, 0, v[8:9]
	s_cbranch_vccnz .LBB5_75
; %bb.74:                               ;   in Loop: Header=BB5_3 Depth=1
	global_load_dword v10, v[6:7], off offset:24
	s_waitcnt vmcnt(0)
	v_readfirstlane_b32 s12, v10
	s_waitcnt_vscnt null, 0x0
	global_store_dwordx2 v[8:9], v[10:11], off
	s_and_b32 m0, s12, 0x7fffff
	s_sendmsg sendmsg(MSG_INTERRUPT)
.LBB5_75:                               ;   in Loop: Header=BB5_3 Depth=1
	s_or_b32 exec_lo, exec_lo, s5
	v_add_co_u32 v6, vcc_lo, v0, v29
	v_add_co_ci_u32_e64 v7, null, 0, v28, vcc_lo
	s_branch .LBB5_79
	.p2align	6
.LBB5_76:                               ;   in Loop: Header=BB5_79 Depth=2
	s_or_b32 exec_lo, exec_lo, s5
	v_readfirstlane_b32 s5, v0
	s_cmp_eq_u32 s5, 0
	s_cbranch_scc1 .LBB5_78
; %bb.77:                               ;   in Loop: Header=BB5_79 Depth=2
	s_sleep 1
	s_cbranch_execnz .LBB5_79
	s_branch .LBB5_81
	.p2align	6
.LBB5_78:                               ;   in Loop: Header=BB5_3 Depth=1
	s_branch .LBB5_81
.LBB5_79:                               ;   Parent Loop BB5_3 Depth=1
                                        ; =>  This Inner Loop Header: Depth=2
	v_mov_b32_e32 v0, 1
	s_and_saveexec_b32 s5, s4
	s_cbranch_execz .LBB5_76
; %bb.80:                               ;   in Loop: Header=BB5_79 Depth=2
	global_load_dword v0, v[34:35], off offset:20 glc dlc
	s_waitcnt vmcnt(0)
	buffer_gl1_inv
	buffer_gl0_inv
	v_and_b32_e32 v0, 1, v0
	s_branch .LBB5_76
.LBB5_81:                               ;   in Loop: Header=BB5_3 Depth=1
	global_load_dwordx2 v[6:7], v[6:7], off
	s_and_saveexec_b32 s12, s4
	s_cbranch_execz .LBB5_2
; %bb.82:                               ;   in Loop: Header=BB5_3 Depth=1
	s_clause 0x2
	global_load_dwordx2 v[8:9], v11, s[6:7] offset:40
	global_load_dwordx2 v[18:19], v11, s[6:7] offset:24 glc dlc
	global_load_dwordx2 v[14:15], v11, s[6:7]
	s_waitcnt vmcnt(2)
	v_readfirstlane_b32 s16, v8
	v_readfirstlane_b32 s17, v9
	s_add_u32 s13, s16, 1
	s_addc_u32 s18, s17, 0
	s_add_u32 s4, s13, s10
	s_addc_u32 s5, s18, s11
	s_cmp_eq_u64 s[4:5], 0
	s_cselect_b32 s5, s18, s5
	s_cselect_b32 s4, s13, s4
	v_mov_b32_e32 v17, s5
	s_and_b64 s[10:11], s[4:5], s[16:17]
	v_mov_b32_e32 v16, s4
	s_mul_i32 s11, s11, 24
	s_mul_hi_u32 s13, s10, 24
	s_mul_i32 s10, s10, 24
	s_add_i32 s13, s13, s11
	s_waitcnt vmcnt(0)
	v_add_co_u32 v8, vcc_lo, v14, s10
	v_add_co_ci_u32_e64 v9, null, s13, v15, vcc_lo
	global_store_dwordx2 v[8:9], v[18:19], off
	s_waitcnt_vscnt null, 0x0
	global_atomic_cmpswap_x2 v[16:17], v11, v[16:19], s[6:7] offset:24 glc
	s_waitcnt vmcnt(0)
	v_cmp_ne_u64_e32 vcc_lo, v[16:17], v[18:19]
	s_and_b32 exec_lo, exec_lo, vcc_lo
	s_cbranch_execz .LBB5_2
; %bb.83:                               ;   in Loop: Header=BB5_3 Depth=1
	s_mov_b32 s10, 0
.LBB5_84:                               ;   Parent Loop BB5_3 Depth=1
                                        ; =>  This Inner Loop Header: Depth=2
	v_mov_b32_e32 v14, s4
	v_mov_b32_e32 v15, s5
	s_sleep 1
	global_store_dwordx2 v[8:9], v[16:17], off
	s_waitcnt_vscnt null, 0x0
	global_atomic_cmpswap_x2 v[14:15], v11, v[14:17], s[6:7] offset:24 glc
	s_waitcnt vmcnt(0)
	v_cmp_eq_u64_e32 vcc_lo, v[14:15], v[16:17]
	v_mov_b32_e32 v17, v15
	v_mov_b32_e32 v16, v14
	s_or_b32 s10, vcc_lo, s10
	s_andn2_b32 exec_lo, exec_lo, s10
	s_cbranch_execnz .LBB5_84
	s_branch .LBB5_2
.LBB5_85:
	s_or_b32 exec_lo, exec_lo, s14
.LBB5_86:
	s_waitcnt vmcnt(0)
	v_mov_b32_e32 v0, v6
	v_mov_b32_e32 v1, v7
	s_waitcnt lgkmcnt(0)
	s_setpc_b64 s[30:31]
.LBB5_87:
                                        ; implicit-def: $vgpr6_vgpr7
	s_cbranch_execz .LBB5_86
; %bb.88:
	s_load_dwordx2 s[6:7], s[8:9], 0x50
	v_readfirstlane_b32 s4, v36
	v_mov_b32_e32 v8, 0
	v_mov_b32_e32 v9, 0
	v_cmp_eq_u32_e64 s4, s4, v36
	s_and_saveexec_b32 s5, s4
	s_cbranch_execz .LBB5_94
; %bb.89:
	v_mov_b32_e32 v0, 0
	s_mov_b32 s8, exec_lo
	s_waitcnt lgkmcnt(0)
	global_load_dwordx2 v[6:7], v0, s[6:7] offset:24 glc dlc
	s_waitcnt vmcnt(0)
	buffer_gl1_inv
	buffer_gl0_inv
	s_clause 0x1
	global_load_dwordx2 v[4:5], v0, s[6:7] offset:40
	global_load_dwordx2 v[8:9], v0, s[6:7]
	s_waitcnt vmcnt(1)
	v_and_b32_e32 v2, v5, v7
	v_and_b32_e32 v4, v4, v6
	v_mul_lo_u32 v2, v2, 24
	v_mul_hi_u32 v5, v4, 24
	v_mul_lo_u32 v4, v4, 24
	v_add_nc_u32_e32 v2, v5, v2
	s_waitcnt vmcnt(0)
	v_add_co_u32 v4, vcc_lo, v8, v4
	v_add_co_ci_u32_e64 v5, null, v9, v2, vcc_lo
	global_load_dwordx2 v[4:5], v[4:5], off glc dlc
	s_waitcnt vmcnt(0)
	global_atomic_cmpswap_x2 v[8:9], v0, v[4:7], s[6:7] offset:24 glc
	s_waitcnt vmcnt(0)
	buffer_gl1_inv
	buffer_gl0_inv
	v_cmpx_ne_u64_e64 v[8:9], v[6:7]
	s_cbranch_execz .LBB5_93
; %bb.90:
	s_mov_b32 s9, 0
	.p2align	6
.LBB5_91:                               ; =>This Inner Loop Header: Depth=1
	s_sleep 1
	s_clause 0x1
	global_load_dwordx2 v[4:5], v0, s[6:7] offset:40
	global_load_dwordx2 v[10:11], v0, s[6:7]
	v_mov_b32_e32 v6, v8
	v_mov_b32_e32 v7, v9
	s_waitcnt vmcnt(1)
	v_and_b32_e32 v2, v4, v6
	v_and_b32_e32 v4, v5, v7
	s_waitcnt vmcnt(0)
	v_mad_u64_u32 v[8:9], null, v2, 24, v[10:11]
	v_mov_b32_e32 v2, v9
	v_mad_u64_u32 v[4:5], null, v4, 24, v[2:3]
	v_mov_b32_e32 v9, v4
	global_load_dwordx2 v[4:5], v[8:9], off glc dlc
	s_waitcnt vmcnt(0)
	global_atomic_cmpswap_x2 v[8:9], v0, v[4:7], s[6:7] offset:24 glc
	s_waitcnt vmcnt(0)
	buffer_gl1_inv
	buffer_gl0_inv
	v_cmp_eq_u64_e32 vcc_lo, v[8:9], v[6:7]
	s_or_b32 s9, vcc_lo, s9
	s_andn2_b32 exec_lo, exec_lo, s9
	s_cbranch_execnz .LBB5_91
; %bb.92:
	s_or_b32 exec_lo, exec_lo, s9
.LBB5_93:
	s_or_b32 exec_lo, exec_lo, s8
.LBB5_94:
	s_or_b32 exec_lo, exec_lo, s5
	v_mov_b32_e32 v2, 0
	v_readfirstlane_b32 s9, v9
	v_readfirstlane_b32 s8, v8
	s_mov_b32 s5, exec_lo
	s_waitcnt lgkmcnt(0)
	s_clause 0x1
	global_load_dwordx2 v[10:11], v2, s[6:7] offset:40
	global_load_dwordx4 v[4:7], v2, s[6:7]
	s_waitcnt vmcnt(1)
	v_readfirstlane_b32 s10, v10
	v_readfirstlane_b32 s11, v11
	s_and_b64 s[10:11], s[10:11], s[8:9]
	s_mul_i32 s12, s11, 24
	s_mul_hi_u32 s13, s10, 24
	s_mul_i32 s14, s10, 24
	s_add_i32 s13, s13, s12
	s_waitcnt vmcnt(0)
	v_add_co_u32 v8, vcc_lo, v4, s14
	v_add_co_ci_u32_e64 v9, null, s13, v5, vcc_lo
	s_and_saveexec_b32 s12, s4
	s_cbranch_execz .LBB5_96
; %bb.95:
	v_mov_b32_e32 v10, s5
	v_mov_b32_e32 v11, v2
	;; [unrolled: 1-line block ×4, first 2 shown]
	global_store_dwordx4 v[8:9], v[10:13], off offset:8
.LBB5_96:
	s_or_b32 exec_lo, exec_lo, s12
	s_lshl_b64 s[10:11], s[10:11], 12
	v_lshlrev_b32_e32 v14, 6, v36
	v_add_co_u32 v6, vcc_lo, v6, s10
	v_add_co_ci_u32_e64 v7, null, s11, v7, vcc_lo
	s_mov_b32 s12, 0
	v_readfirstlane_b32 s10, v6
	v_add_co_u32 v6, vcc_lo, v6, v14
	s_mov_b32 s13, s12
	s_mov_b32 s14, s12
	;; [unrolled: 1-line block ×3, first 2 shown]
	v_and_or_b32 v0, 0xffffff1f, v3, 32
	v_mov_b32_e32 v3, v2
	v_readfirstlane_b32 s11, v7
	v_mov_b32_e32 v10, s12
	v_add_co_ci_u32_e64 v7, null, 0, v7, vcc_lo
	v_mov_b32_e32 v11, s13
	v_mov_b32_e32 v12, s14
	;; [unrolled: 1-line block ×3, first 2 shown]
	global_store_dwordx4 v14, v[0:3], s[10:11]
	global_store_dwordx4 v14, v[10:13], s[10:11] offset:16
	global_store_dwordx4 v14, v[10:13], s[10:11] offset:32
	;; [unrolled: 1-line block ×3, first 2 shown]
	s_and_saveexec_b32 s5, s4
	s_cbranch_execz .LBB5_104
; %bb.97:
	v_mov_b32_e32 v10, 0
	v_mov_b32_e32 v11, s8
	;; [unrolled: 1-line block ×3, first 2 shown]
	s_mov_b32 s10, exec_lo
	s_clause 0x1
	global_load_dwordx2 v[13:14], v10, s[6:7] offset:32 glc dlc
	global_load_dwordx2 v[0:1], v10, s[6:7] offset:40
	s_waitcnt vmcnt(0)
	v_and_b32_e32 v1, s9, v1
	v_and_b32_e32 v0, s8, v0
	v_mul_lo_u32 v1, v1, 24
	v_mul_hi_u32 v2, v0, 24
	v_mul_lo_u32 v0, v0, 24
	v_add_nc_u32_e32 v1, v2, v1
	v_add_co_u32 v4, vcc_lo, v4, v0
	v_add_co_ci_u32_e64 v5, null, v5, v1, vcc_lo
	global_store_dwordx2 v[4:5], v[13:14], off
	s_waitcnt_vscnt null, 0x0
	global_atomic_cmpswap_x2 v[2:3], v10, v[11:14], s[6:7] offset:32 glc
	s_waitcnt vmcnt(0)
	v_cmpx_ne_u64_e64 v[2:3], v[13:14]
	s_cbranch_execz .LBB5_100
; %bb.98:
	s_mov_b32 s11, 0
.LBB5_99:                               ; =>This Inner Loop Header: Depth=1
	v_mov_b32_e32 v0, s8
	v_mov_b32_e32 v1, s9
	s_sleep 1
	global_store_dwordx2 v[4:5], v[2:3], off
	s_waitcnt_vscnt null, 0x0
	global_atomic_cmpswap_x2 v[0:1], v10, v[0:3], s[6:7] offset:32 glc
	s_waitcnt vmcnt(0)
	v_cmp_eq_u64_e32 vcc_lo, v[0:1], v[2:3]
	v_mov_b32_e32 v3, v1
	v_mov_b32_e32 v2, v0
	s_or_b32 s11, vcc_lo, s11
	s_andn2_b32 exec_lo, exec_lo, s11
	s_cbranch_execnz .LBB5_99
.LBB5_100:
	s_or_b32 exec_lo, exec_lo, s10
	v_mov_b32_e32 v3, 0
	s_mov_b32 s11, exec_lo
	s_mov_b32 s10, exec_lo
	v_mbcnt_lo_u32_b32 v2, s11, 0
	global_load_dwordx2 v[0:1], v3, s[6:7] offset:16
	v_cmpx_eq_u32_e32 0, v2
	s_cbranch_execz .LBB5_102
; %bb.101:
	s_bcnt1_i32_b32 s11, s11
	v_mov_b32_e32 v2, s11
	s_waitcnt vmcnt(0)
	global_atomic_add_x2 v[0:1], v[2:3], off offset:8
.LBB5_102:
	s_or_b32 exec_lo, exec_lo, s10
	s_waitcnt vmcnt(0)
	global_load_dwordx2 v[2:3], v[0:1], off offset:16
	s_waitcnt vmcnt(0)
	v_cmp_eq_u64_e32 vcc_lo, 0, v[2:3]
	s_cbranch_vccnz .LBB5_104
; %bb.103:
	global_load_dword v0, v[0:1], off offset:24
	v_mov_b32_e32 v1, 0
	s_waitcnt vmcnt(0)
	v_readfirstlane_b32 s10, v0
	s_waitcnt_vscnt null, 0x0
	global_store_dwordx2 v[2:3], v[0:1], off
	s_and_b32 m0, s10, 0x7fffff
	s_sendmsg sendmsg(MSG_INTERRUPT)
.LBB5_104:
	s_or_b32 exec_lo, exec_lo, s5
	s_branch .LBB5_108
	.p2align	6
.LBB5_105:                              ;   in Loop: Header=BB5_108 Depth=1
	s_or_b32 exec_lo, exec_lo, s5
	v_readfirstlane_b32 s5, v0
	s_cmp_eq_u32 s5, 0
	s_cbranch_scc1 .LBB5_107
; %bb.106:                              ;   in Loop: Header=BB5_108 Depth=1
	s_sleep 1
	s_cbranch_execnz .LBB5_108
	s_branch .LBB5_110
	.p2align	6
.LBB5_107:
	s_branch .LBB5_110
.LBB5_108:                              ; =>This Inner Loop Header: Depth=1
	v_mov_b32_e32 v0, 1
	s_and_saveexec_b32 s5, s4
	s_cbranch_execz .LBB5_105
; %bb.109:                              ;   in Loop: Header=BB5_108 Depth=1
	global_load_dword v0, v[8:9], off offset:20 glc dlc
	s_waitcnt vmcnt(0)
	buffer_gl1_inv
	buffer_gl0_inv
	v_and_b32_e32 v0, 1, v0
	s_branch .LBB5_105
.LBB5_110:
	global_load_dwordx2 v[6:7], v[6:7], off
	s_and_saveexec_b32 s10, s4
	s_cbranch_execz .LBB5_114
; %bb.111:
	v_mov_b32_e32 v8, 0
	s_clause 0x2
	global_load_dwordx2 v[0:1], v8, s[6:7] offset:40
	global_load_dwordx2 v[11:12], v8, s[6:7] offset:24 glc dlc
	global_load_dwordx2 v[2:3], v8, s[6:7]
	s_waitcnt vmcnt(2)
	v_readfirstlane_b32 s12, v0
	v_readfirstlane_b32 s13, v1
	s_add_u32 s11, s12, 1
	s_addc_u32 s14, s13, 0
	s_add_u32 s4, s11, s8
	s_addc_u32 s5, s14, s9
	s_cmp_eq_u64 s[4:5], 0
	s_cselect_b32 s5, s14, s5
	s_cselect_b32 s4, s11, s4
	v_mov_b32_e32 v10, s5
	s_and_b64 s[8:9], s[4:5], s[12:13]
	v_mov_b32_e32 v9, s4
	s_mul_i32 s9, s9, 24
	s_mul_hi_u32 s11, s8, 24
	s_mul_i32 s8, s8, 24
	s_add_i32 s11, s11, s9
	s_waitcnt vmcnt(0)
	v_add_co_u32 v4, vcc_lo, v2, s8
	v_add_co_ci_u32_e64 v5, null, s11, v3, vcc_lo
	global_store_dwordx2 v[4:5], v[11:12], off
	s_waitcnt_vscnt null, 0x0
	global_atomic_cmpswap_x2 v[2:3], v8, v[9:12], s[6:7] offset:24 glc
	s_waitcnt vmcnt(0)
	v_cmp_ne_u64_e32 vcc_lo, v[2:3], v[11:12]
	s_and_b32 exec_lo, exec_lo, vcc_lo
	s_cbranch_execz .LBB5_114
; %bb.112:
	s_mov_b32 s8, 0
.LBB5_113:                              ; =>This Inner Loop Header: Depth=1
	v_mov_b32_e32 v0, s4
	v_mov_b32_e32 v1, s5
	s_sleep 1
	global_store_dwordx2 v[4:5], v[2:3], off
	s_waitcnt_vscnt null, 0x0
	global_atomic_cmpswap_x2 v[0:1], v8, v[0:3], s[6:7] offset:24 glc
	s_waitcnt vmcnt(0)
	v_cmp_eq_u64_e32 vcc_lo, v[0:1], v[2:3]
	v_mov_b32_e32 v3, v1
	v_mov_b32_e32 v2, v0
	s_or_b32 s8, vcc_lo, s8
	s_andn2_b32 exec_lo, exec_lo, s8
	s_cbranch_execnz .LBB5_113
.LBB5_114:
	s_or_b32 exec_lo, exec_lo, s10
	s_waitcnt vmcnt(0)
	v_mov_b32_e32 v0, v6
	v_mov_b32_e32 v1, v7
	s_waitcnt lgkmcnt(0)
	s_setpc_b64 s[30:31]
.Lfunc_end5:
	.size	__ockl_printf_append_string_n, .Lfunc_end5-__ockl_printf_append_string_n
                                        ; -- End function
	.set .L__ockl_printf_append_string_n.num_vgpr, 39
	.set .L__ockl_printf_append_string_n.num_agpr, 0
	.set .L__ockl_printf_append_string_n.numbered_sgpr, 32
	.set .L__ockl_printf_append_string_n.num_named_barrier, 0
	.set .L__ockl_printf_append_string_n.private_seg_size, 0
	.set .L__ockl_printf_append_string_n.uses_vcc, 1
	.set .L__ockl_printf_append_string_n.uses_flat_scratch, 0
	.set .L__ockl_printf_append_string_n.has_dyn_sized_stack, 0
	.set .L__ockl_printf_append_string_n.has_recursion, 0
	.set .L__ockl_printf_append_string_n.has_indirect_call, 0
	.section	.AMDGPU.csdata,"",@progbits
; Function info:
; codeLenInByte = 4600
; TotalNumSgprs: 34
; NumVgprs: 39
; ScratchSize: 0
; MemoryBound: 0
	.text
	.p2align	2                               ; -- Begin function __ockl_printf_append_args
	.type	__ockl_printf_append_args,@function
__ockl_printf_append_args:              ; @__ockl_printf_append_args
; %bb.0:
	s_waitcnt vmcnt(0) expcnt(0) lgkmcnt(0)
	s_load_dwordx2 s[6:7], s[8:9], 0x50
	v_mbcnt_lo_u32_b32 v15, -1, 0
	v_mov_b32_e32 v11, 0
	v_mov_b32_e32 v12, 0
	v_readfirstlane_b32 s4, v15
	v_cmp_eq_u32_e64 s4, s4, v15
	s_and_saveexec_b32 s5, s4
	s_cbranch_execz .LBB6_6
; %bb.1:
	v_mov_b32_e32 v5, 0
	s_mov_b32 s8, exec_lo
	s_waitcnt lgkmcnt(0)
	global_load_dwordx2 v[8:9], v5, s[6:7] offset:24 glc dlc
	s_waitcnt vmcnt(0)
	buffer_gl1_inv
	buffer_gl0_inv
	s_clause 0x1
	global_load_dwordx2 v[6:7], v5, s[6:7] offset:40
	global_load_dwordx2 v[10:11], v5, s[6:7]
	s_waitcnt vmcnt(1)
	v_and_b32_e32 v7, v7, v9
	v_and_b32_e32 v6, v6, v8
	v_mul_lo_u32 v7, v7, 24
	v_mul_hi_u32 v12, v6, 24
	v_mul_lo_u32 v6, v6, 24
	v_add_nc_u32_e32 v7, v12, v7
	s_waitcnt vmcnt(0)
	v_add_co_u32 v6, vcc_lo, v10, v6
	v_add_co_ci_u32_e64 v7, null, v11, v7, vcc_lo
	global_load_dwordx2 v[6:7], v[6:7], off glc dlc
	s_waitcnt vmcnt(0)
	global_atomic_cmpswap_x2 v[11:12], v5, v[6:9], s[6:7] offset:24 glc
	s_waitcnt vmcnt(0)
	buffer_gl1_inv
	buffer_gl0_inv
	v_cmpx_ne_u64_e64 v[11:12], v[8:9]
	s_cbranch_execz .LBB6_5
; %bb.2:
	s_mov_b32 s9, 0
	.p2align	6
.LBB6_3:                                ; =>This Inner Loop Header: Depth=1
	s_sleep 1
	s_clause 0x1
	global_load_dwordx2 v[6:7], v5, s[6:7] offset:40
	global_load_dwordx2 v[13:14], v5, s[6:7]
	v_mov_b32_e32 v8, v11
	v_mov_b32_e32 v9, v12
	s_waitcnt vmcnt(1)
	v_and_b32_e32 v6, v6, v8
	v_and_b32_e32 v7, v7, v9
	s_waitcnt vmcnt(0)
	v_mad_u64_u32 v[10:11], null, v6, 24, v[13:14]
	v_mov_b32_e32 v6, v11
	v_mad_u64_u32 v[6:7], null, v7, 24, v[6:7]
	v_mov_b32_e32 v11, v6
	global_load_dwordx2 v[6:7], v[10:11], off glc dlc
	s_waitcnt vmcnt(0)
	global_atomic_cmpswap_x2 v[11:12], v5, v[6:9], s[6:7] offset:24 glc
	s_waitcnt vmcnt(0)
	buffer_gl1_inv
	buffer_gl0_inv
	v_cmp_eq_u64_e32 vcc_lo, v[11:12], v[8:9]
	s_or_b32 s9, vcc_lo, s9
	s_andn2_b32 exec_lo, exec_lo, s9
	s_cbranch_execnz .LBB6_3
; %bb.4:
	s_or_b32 exec_lo, exec_lo, s9
.LBB6_5:
	s_or_b32 exec_lo, exec_lo, s8
.LBB6_6:
	s_or_b32 exec_lo, exec_lo, s5
	v_mov_b32_e32 v10, 0
	v_readfirstlane_b32 s9, v12
	v_readfirstlane_b32 s8, v11
	s_mov_b32 s5, exec_lo
	s_waitcnt lgkmcnt(0)
	s_clause 0x1
	global_load_dwordx2 v[13:14], v10, s[6:7] offset:40
	global_load_dwordx4 v[5:8], v10, s[6:7]
	s_waitcnt vmcnt(1)
	v_readfirstlane_b32 s10, v13
	v_readfirstlane_b32 s11, v14
	s_and_b64 s[10:11], s[10:11], s[8:9]
	s_mul_i32 s12, s11, 24
	s_mul_hi_u32 s13, s10, 24
	s_mul_i32 s14, s10, 24
	s_add_i32 s13, s13, s12
	s_waitcnt vmcnt(0)
	v_add_co_u32 v13, vcc_lo, v5, s14
	v_add_co_ci_u32_e64 v14, null, s13, v6, vcc_lo
	s_and_saveexec_b32 s12, s4
	s_cbranch_execz .LBB6_8
; %bb.7:
	v_mov_b32_e32 v9, s5
	v_mov_b32_e32 v11, 2
	;; [unrolled: 1-line block ×3, first 2 shown]
	global_store_dwordx4 v[13:14], v[9:12], off offset:8
.LBB6_8:
	s_or_b32 exec_lo, exec_lo, s12
	v_or_b32_e32 v9, 2, v0
	v_cmp_eq_u32_e32 vcc_lo, 0, v4
	s_lshl_b64 s[10:11], s[10:11], 12
	s_mov_b32 s12, 0
	v_lshlrev_b32_e32 v11, 6, v15
	s_mov_b32 s13, s12
	v_cndmask_b32_e32 v0, v9, v0, vcc_lo
	v_add_co_u32 v4, vcc_lo, v7, s10
	v_add_co_ci_u32_e64 v7, null, s11, v8, vcc_lo
	s_mov_b32 s14, s12
	s_mov_b32 s15, s12
	v_and_or_b32 v0, 0xffffff1f, v0, 32
	v_readfirstlane_b32 s10, v4
	v_readfirstlane_b32 s11, v7
	v_mov_b32_e32 v7, s12
	v_mov_b32_e32 v8, s13
	;; [unrolled: 1-line block ×4, first 2 shown]
	global_store_dwordx4 v11, v[0:3], s[10:11]
	global_store_dwordx4 v11, v[7:10], s[10:11] offset:16
	global_store_dwordx4 v11, v[7:10], s[10:11] offset:32
	;; [unrolled: 1-line block ×3, first 2 shown]
	s_and_saveexec_b32 s5, s4
	s_cbranch_execz .LBB6_16
; %bb.9:
	v_mov_b32_e32 v7, 0
	v_mov_b32_e32 v8, s8
	;; [unrolled: 1-line block ×3, first 2 shown]
	s_mov_b32 s10, exec_lo
	s_clause 0x1
	global_load_dwordx2 v[10:11], v7, s[6:7] offset:32 glc dlc
	global_load_dwordx2 v[0:1], v7, s[6:7] offset:40
	s_waitcnt vmcnt(0)
	v_and_b32_e32 v1, s9, v1
	v_and_b32_e32 v0, s8, v0
	v_mul_lo_u32 v1, v1, 24
	v_mul_hi_u32 v2, v0, 24
	v_mul_lo_u32 v0, v0, 24
	v_add_nc_u32_e32 v1, v2, v1
	v_add_co_u32 v4, vcc_lo, v5, v0
	v_add_co_ci_u32_e64 v5, null, v6, v1, vcc_lo
	global_store_dwordx2 v[4:5], v[10:11], off
	s_waitcnt_vscnt null, 0x0
	global_atomic_cmpswap_x2 v[2:3], v7, v[8:11], s[6:7] offset:32 glc
	s_waitcnt vmcnt(0)
	v_cmpx_ne_u64_e64 v[2:3], v[10:11]
	s_cbranch_execz .LBB6_12
; %bb.10:
	s_mov_b32 s11, 0
.LBB6_11:                               ; =>This Inner Loop Header: Depth=1
	v_mov_b32_e32 v0, s8
	v_mov_b32_e32 v1, s9
	s_sleep 1
	global_store_dwordx2 v[4:5], v[2:3], off
	s_waitcnt_vscnt null, 0x0
	global_atomic_cmpswap_x2 v[0:1], v7, v[0:3], s[6:7] offset:32 glc
	s_waitcnt vmcnt(0)
	v_cmp_eq_u64_e32 vcc_lo, v[0:1], v[2:3]
	v_mov_b32_e32 v3, v1
	v_mov_b32_e32 v2, v0
	s_or_b32 s11, vcc_lo, s11
	s_andn2_b32 exec_lo, exec_lo, s11
	s_cbranch_execnz .LBB6_11
.LBB6_12:
	s_or_b32 exec_lo, exec_lo, s10
	v_mov_b32_e32 v3, 0
	s_mov_b32 s11, exec_lo
	s_mov_b32 s10, exec_lo
	v_mbcnt_lo_u32_b32 v2, s11, 0
	global_load_dwordx2 v[0:1], v3, s[6:7] offset:16
	v_cmpx_eq_u32_e32 0, v2
	s_cbranch_execz .LBB6_14
; %bb.13:
	s_bcnt1_i32_b32 s11, s11
	v_mov_b32_e32 v2, s11
	s_waitcnt vmcnt(0)
	global_atomic_add_x2 v[0:1], v[2:3], off offset:8
.LBB6_14:
	s_or_b32 exec_lo, exec_lo, s10
	s_waitcnt vmcnt(0)
	global_load_dwordx2 v[2:3], v[0:1], off offset:16
	s_waitcnt vmcnt(0)
	v_cmp_eq_u64_e32 vcc_lo, 0, v[2:3]
	s_cbranch_vccnz .LBB6_16
; %bb.15:
	global_load_dword v0, v[0:1], off offset:24
	v_mov_b32_e32 v1, 0
	s_waitcnt vmcnt(0)
	v_readfirstlane_b32 s10, v0
	s_waitcnt_vscnt null, 0x0
	global_store_dwordx2 v[2:3], v[0:1], off
	s_and_b32 m0, s10, 0x7fffff
	s_sendmsg sendmsg(MSG_INTERRUPT)
.LBB6_16:
	s_or_b32 exec_lo, exec_lo, s5
	s_branch .LBB6_20
	.p2align	6
.LBB6_17:                               ;   in Loop: Header=BB6_20 Depth=1
	s_or_b32 exec_lo, exec_lo, s5
	v_readfirstlane_b32 s5, v0
	s_cmp_eq_u32 s5, 0
	s_cbranch_scc1 .LBB6_19
; %bb.18:                               ;   in Loop: Header=BB6_20 Depth=1
	s_sleep 1
	s_cbranch_execnz .LBB6_20
	s_branch .LBB6_22
	.p2align	6
.LBB6_19:
	s_branch .LBB6_22
.LBB6_20:                               ; =>This Inner Loop Header: Depth=1
	v_mov_b32_e32 v0, 1
	s_and_saveexec_b32 s5, s4
	s_cbranch_execz .LBB6_17
; %bb.21:                               ;   in Loop: Header=BB6_20 Depth=1
	global_load_dword v0, v[13:14], off offset:20 glc dlc
	s_waitcnt vmcnt(0)
	buffer_gl1_inv
	buffer_gl0_inv
	v_and_b32_e32 v0, 1, v0
	s_branch .LBB6_17
.LBB6_22:
	s_and_saveexec_b32 s10, s4
	s_cbranch_execz .LBB6_26
; %bb.23:
	v_mov_b32_e32 v6, 0
	s_clause 0x2
	global_load_dwordx2 v[0:1], v6, s[6:7] offset:40
	global_load_dwordx2 v[9:10], v6, s[6:7] offset:24 glc dlc
	global_load_dwordx2 v[2:3], v6, s[6:7]
	s_waitcnt vmcnt(2)
	v_readfirstlane_b32 s12, v0
	v_readfirstlane_b32 s13, v1
	s_add_u32 s11, s12, 1
	s_addc_u32 s14, s13, 0
	s_add_u32 s4, s11, s8
	s_addc_u32 s5, s14, s9
	s_cmp_eq_u64 s[4:5], 0
	s_cselect_b32 s5, s14, s5
	s_cselect_b32 s4, s11, s4
	v_mov_b32_e32 v8, s5
	s_and_b64 s[8:9], s[4:5], s[12:13]
	v_mov_b32_e32 v7, s4
	s_mul_i32 s9, s9, 24
	s_mul_hi_u32 s11, s8, 24
	s_mul_i32 s8, s8, 24
	s_add_i32 s11, s11, s9
	s_waitcnt vmcnt(0)
	v_add_co_u32 v4, vcc_lo, v2, s8
	v_add_co_ci_u32_e64 v5, null, s11, v3, vcc_lo
	global_store_dwordx2 v[4:5], v[9:10], off
	s_waitcnt_vscnt null, 0x0
	global_atomic_cmpswap_x2 v[2:3], v6, v[7:10], s[6:7] offset:24 glc
	s_waitcnt vmcnt(0)
	v_cmp_ne_u64_e32 vcc_lo, v[2:3], v[9:10]
	s_and_b32 exec_lo, exec_lo, vcc_lo
	s_cbranch_execz .LBB6_26
; %bb.24:
	s_mov_b32 s8, 0
.LBB6_25:                               ; =>This Inner Loop Header: Depth=1
	v_mov_b32_e32 v0, s4
	v_mov_b32_e32 v1, s5
	s_sleep 1
	global_store_dwordx2 v[4:5], v[2:3], off
	s_waitcnt_vscnt null, 0x0
	global_atomic_cmpswap_x2 v[0:1], v6, v[0:3], s[6:7] offset:24 glc
	s_waitcnt vmcnt(0)
	v_cmp_eq_u64_e32 vcc_lo, v[0:1], v[2:3]
	v_mov_b32_e32 v3, v1
	v_mov_b32_e32 v2, v0
	s_or_b32 s8, vcc_lo, s8
	s_andn2_b32 exec_lo, exec_lo, s8
	s_cbranch_execnz .LBB6_25
.LBB6_26:
	s_or_b32 exec_lo, exec_lo, s10
	s_waitcnt lgkmcnt(0)
	s_setpc_b64 s[30:31]
.Lfunc_end6:
	.size	__ockl_printf_append_args, .Lfunc_end6-__ockl_printf_append_args
                                        ; -- End function
	.set .L__ockl_printf_append_args.num_vgpr, 16
	.set .L__ockl_printf_append_args.num_agpr, 0
	.set .L__ockl_printf_append_args.numbered_sgpr, 32
	.set .L__ockl_printf_append_args.num_named_barrier, 0
	.set .L__ockl_printf_append_args.private_seg_size, 0
	.set .L__ockl_printf_append_args.uses_vcc, 1
	.set .L__ockl_printf_append_args.uses_flat_scratch, 0
	.set .L__ockl_printf_append_args.has_dyn_sized_stack, 0
	.set .L__ockl_printf_append_args.has_recursion, 0
	.set .L__ockl_printf_append_args.has_indirect_call, 0
	.section	.AMDGPU.csdata,"",@progbits
; Function info:
; codeLenInByte = 1380
; TotalNumSgprs: 34
; NumVgprs: 16
; ScratchSize: 0
; MemoryBound: 0
	.text
	.p2align	2                               ; -- Begin function _ZL14no_device_codePKciS0_iS0_
	.type	_ZL14no_device_codePKciS0_iS0_,@function
_ZL14no_device_codePKciS0_iS0_:         ; @_ZL14no_device_codePKciS0_iS0_
; %bb.0:
	s_waitcnt vmcnt(0) expcnt(0) lgkmcnt(0)
	s_mov_b32 s24, s33
	s_mov_b32 s33, s32
	s_xor_saveexec_b32 s4, -1
	buffer_store_dword v39, off, s[0:3], s33 ; 4-byte Folded Spill
	s_mov_b32 exec_lo, s4
	v_writelane_b32 v39, s30, 0
	s_addk_i32 s32, 0x200
	v_writelane_b32 v39, s31, 1
	s_load_dwordx2 s[6:7], s[8:9], 0x50
	v_mbcnt_lo_u32_b32 v29, -1, 0
	v_mov_b32_e32 v6, 0
	v_mov_b32_e32 v7, 0
	v_readfirstlane_b32 s4, v29
	v_cmp_eq_u32_e64 s4, s4, v29
	s_and_saveexec_b32 s5, s4
	s_cbranch_execz .LBB7_6
; %bb.1:
	v_mov_b32_e32 v0, 0
	s_mov_b32 s10, exec_lo
	s_waitcnt lgkmcnt(0)
	global_load_dwordx2 v[3:4], v0, s[6:7] offset:24 glc dlc
	s_waitcnt vmcnt(0)
	buffer_gl1_inv
	buffer_gl0_inv
	s_clause 0x1
	global_load_dwordx2 v[1:2], v0, s[6:7] offset:40
	global_load_dwordx2 v[5:6], v0, s[6:7]
	s_waitcnt vmcnt(1)
	v_and_b32_e32 v2, v2, v4
	v_and_b32_e32 v1, v1, v3
	v_mul_lo_u32 v2, v2, 24
	v_mul_hi_u32 v7, v1, 24
	v_mul_lo_u32 v1, v1, 24
	v_add_nc_u32_e32 v2, v7, v2
	s_waitcnt vmcnt(0)
	v_add_co_u32 v1, vcc_lo, v5, v1
	v_add_co_ci_u32_e64 v2, null, v6, v2, vcc_lo
	global_load_dwordx2 v[1:2], v[1:2], off glc dlc
	s_waitcnt vmcnt(0)
	global_atomic_cmpswap_x2 v[6:7], v0, v[1:4], s[6:7] offset:24 glc
	s_waitcnt vmcnt(0)
	buffer_gl1_inv
	buffer_gl0_inv
	v_cmpx_ne_u64_e64 v[6:7], v[3:4]
	s_cbranch_execz .LBB7_5
; %bb.2:
	s_mov_b32 s11, 0
	.p2align	6
.LBB7_3:                                ; =>This Inner Loop Header: Depth=1
	s_sleep 1
	s_clause 0x1
	global_load_dwordx2 v[1:2], v0, s[6:7] offset:40
	global_load_dwordx2 v[8:9], v0, s[6:7]
	v_mov_b32_e32 v3, v6
	v_mov_b32_e32 v4, v7
	s_waitcnt vmcnt(1)
	v_and_b32_e32 v1, v1, v3
	v_and_b32_e32 v2, v2, v4
	s_waitcnt vmcnt(0)
	v_mad_u64_u32 v[5:6], null, v1, 24, v[8:9]
	v_mov_b32_e32 v1, v6
	v_mad_u64_u32 v[1:2], null, v2, 24, v[1:2]
	v_mov_b32_e32 v6, v1
	global_load_dwordx2 v[1:2], v[5:6], off glc dlc
	s_waitcnt vmcnt(0)
	global_atomic_cmpswap_x2 v[6:7], v0, v[1:4], s[6:7] offset:24 glc
	s_waitcnt vmcnt(0)
	buffer_gl1_inv
	buffer_gl0_inv
	v_cmp_eq_u64_e32 vcc_lo, v[6:7], v[3:4]
	s_or_b32 s11, vcc_lo, s11
	s_andn2_b32 exec_lo, exec_lo, s11
	s_cbranch_execnz .LBB7_3
; %bb.4:
	s_or_b32 exec_lo, exec_lo, s11
.LBB7_5:
	s_or_b32 exec_lo, exec_lo, s10
.LBB7_6:
	s_or_b32 exec_lo, exec_lo, s5
	v_mov_b32_e32 v5, 0
	v_readfirstlane_b32 s11, v7
	v_readfirstlane_b32 s10, v6
	s_mov_b32 s5, exec_lo
	s_waitcnt lgkmcnt(0)
	s_clause 0x1
	global_load_dwordx2 v[8:9], v5, s[6:7] offset:40
	global_load_dwordx4 v[0:3], v5, s[6:7]
	s_waitcnt vmcnt(1)
	v_readfirstlane_b32 s12, v8
	v_readfirstlane_b32 s13, v9
	s_and_b64 s[12:13], s[12:13], s[10:11]
	s_mul_i32 s14, s13, 24
	s_mul_hi_u32 s15, s12, 24
	s_mul_i32 s16, s12, 24
	s_add_i32 s15, s15, s14
	s_waitcnt vmcnt(0)
	v_add_co_u32 v8, vcc_lo, v0, s16
	v_add_co_ci_u32_e64 v9, null, s15, v1, vcc_lo
	s_and_saveexec_b32 s14, s4
	s_cbranch_execz .LBB7_8
; %bb.7:
	v_mov_b32_e32 v4, s5
	v_mov_b32_e32 v6, 2
	;; [unrolled: 1-line block ×3, first 2 shown]
	global_store_dwordx4 v[8:9], v[4:7], off offset:8
.LBB7_8:
	s_or_b32 exec_lo, exec_lo, s14
	s_lshl_b64 s[12:13], s[12:13], 12
	v_lshlrev_b32_e32 v28, 6, v29
	v_add_co_u32 v2, vcc_lo, v2, s12
	v_add_co_ci_u32_e64 v3, null, s13, v3, vcc_lo
	s_mov_b32 s12, 0
	v_add_co_u32 v10, vcc_lo, v2, v28
	s_mov_b32 s13, s12
	s_mov_b32 s14, s12
	;; [unrolled: 1-line block ×3, first 2 shown]
	v_mov_b32_e32 v4, 33
	v_mov_b32_e32 v6, v5
	;; [unrolled: 1-line block ×3, first 2 shown]
	v_readfirstlane_b32 s16, v2
	v_readfirstlane_b32 s17, v3
	v_mov_b32_e32 v12, s12
	v_add_co_ci_u32_e64 v11, null, 0, v3, vcc_lo
	v_mov_b32_e32 v13, s13
	v_mov_b32_e32 v14, s14
	v_mov_b32_e32 v15, s15
	global_store_dwordx4 v28, v[4:7], s[16:17]
	global_store_dwordx4 v28, v[12:15], s[16:17] offset:16
	global_store_dwordx4 v28, v[12:15], s[16:17] offset:32
	;; [unrolled: 1-line block ×3, first 2 shown]
	s_and_saveexec_b32 s5, s4
	s_cbranch_execz .LBB7_16
; %bb.9:
	v_mov_b32_e32 v6, 0
	v_mov_b32_e32 v12, s10
	;; [unrolled: 1-line block ×3, first 2 shown]
	s_mov_b32 s12, exec_lo
	s_clause 0x1
	global_load_dwordx2 v[14:15], v6, s[6:7] offset:32 glc dlc
	global_load_dwordx2 v[2:3], v6, s[6:7] offset:40
	s_waitcnt vmcnt(0)
	v_and_b32_e32 v3, s11, v3
	v_and_b32_e32 v2, s10, v2
	v_mul_lo_u32 v3, v3, 24
	v_mul_hi_u32 v4, v2, 24
	v_mul_lo_u32 v2, v2, 24
	v_add_nc_u32_e32 v3, v4, v3
	v_add_co_u32 v4, vcc_lo, v0, v2
	v_add_co_ci_u32_e64 v5, null, v1, v3, vcc_lo
	global_store_dwordx2 v[4:5], v[14:15], off
	s_waitcnt_vscnt null, 0x0
	global_atomic_cmpswap_x2 v[2:3], v6, v[12:15], s[6:7] offset:32 glc
	s_waitcnt vmcnt(0)
	v_cmpx_ne_u64_e64 v[2:3], v[14:15]
	s_cbranch_execz .LBB7_12
; %bb.10:
	s_mov_b32 s13, 0
.LBB7_11:                               ; =>This Inner Loop Header: Depth=1
	v_mov_b32_e32 v0, s10
	v_mov_b32_e32 v1, s11
	s_sleep 1
	global_store_dwordx2 v[4:5], v[2:3], off
	s_waitcnt_vscnt null, 0x0
	global_atomic_cmpswap_x2 v[0:1], v6, v[0:3], s[6:7] offset:32 glc
	s_waitcnt vmcnt(0)
	v_cmp_eq_u64_e32 vcc_lo, v[0:1], v[2:3]
	v_mov_b32_e32 v3, v1
	v_mov_b32_e32 v2, v0
	s_or_b32 s13, vcc_lo, s13
	s_andn2_b32 exec_lo, exec_lo, s13
	s_cbranch_execnz .LBB7_11
.LBB7_12:
	s_or_b32 exec_lo, exec_lo, s12
	v_mov_b32_e32 v3, 0
	s_mov_b32 s13, exec_lo
	s_mov_b32 s12, exec_lo
	v_mbcnt_lo_u32_b32 v2, s13, 0
	global_load_dwordx2 v[0:1], v3, s[6:7] offset:16
	v_cmpx_eq_u32_e32 0, v2
	s_cbranch_execz .LBB7_14
; %bb.13:
	s_bcnt1_i32_b32 s13, s13
	v_mov_b32_e32 v2, s13
	s_waitcnt vmcnt(0)
	global_atomic_add_x2 v[0:1], v[2:3], off offset:8
.LBB7_14:
	s_or_b32 exec_lo, exec_lo, s12
	s_waitcnt vmcnt(0)
	global_load_dwordx2 v[2:3], v[0:1], off offset:16
	s_waitcnt vmcnt(0)
	v_cmp_eq_u64_e32 vcc_lo, 0, v[2:3]
	s_cbranch_vccnz .LBB7_16
; %bb.15:
	global_load_dword v0, v[0:1], off offset:24
	v_mov_b32_e32 v1, 0
	s_waitcnt vmcnt(0)
	v_readfirstlane_b32 s12, v0
	s_waitcnt_vscnt null, 0x0
	global_store_dwordx2 v[2:3], v[0:1], off
	s_and_b32 m0, s12, 0x7fffff
	s_sendmsg sendmsg(MSG_INTERRUPT)
.LBB7_16:
	s_or_b32 exec_lo, exec_lo, s5
	s_branch .LBB7_20
	.p2align	6
.LBB7_17:                               ;   in Loop: Header=BB7_20 Depth=1
	s_or_b32 exec_lo, exec_lo, s5
	v_readfirstlane_b32 s5, v0
	s_cmp_eq_u32 s5, 0
	s_cbranch_scc1 .LBB7_19
; %bb.18:                               ;   in Loop: Header=BB7_20 Depth=1
	s_sleep 1
	s_cbranch_execnz .LBB7_20
	s_branch .LBB7_22
	.p2align	6
.LBB7_19:
	s_branch .LBB7_22
.LBB7_20:                               ; =>This Inner Loop Header: Depth=1
	v_mov_b32_e32 v0, 1
	s_and_saveexec_b32 s5, s4
	s_cbranch_execz .LBB7_17
; %bb.21:                               ;   in Loop: Header=BB7_20 Depth=1
	global_load_dword v0, v[8:9], off offset:20 glc dlc
	s_waitcnt vmcnt(0)
	buffer_gl1_inv
	buffer_gl0_inv
	v_and_b32_e32 v0, 1, v0
	s_branch .LBB7_17
.LBB7_22:
	global_load_dwordx2 v[4:5], v[10:11], off
	s_and_saveexec_b32 s12, s4
	s_cbranch_execz .LBB7_26
; %bb.23:
	v_mov_b32_e32 v8, 0
	s_clause 0x2
	global_load_dwordx2 v[0:1], v8, s[6:7] offset:40
	global_load_dwordx2 v[11:12], v8, s[6:7] offset:24 glc dlc
	global_load_dwordx2 v[2:3], v8, s[6:7]
	s_waitcnt vmcnt(2)
	v_readfirstlane_b32 s14, v0
	v_readfirstlane_b32 s15, v1
	s_add_u32 s13, s14, 1
	s_addc_u32 s16, s15, 0
	s_add_u32 s4, s13, s10
	s_addc_u32 s5, s16, s11
	s_cmp_eq_u64 s[4:5], 0
	s_cselect_b32 s5, s16, s5
	s_cselect_b32 s4, s13, s4
	v_mov_b32_e32 v10, s5
	s_and_b64 s[10:11], s[4:5], s[14:15]
	v_mov_b32_e32 v9, s4
	s_mul_i32 s11, s11, 24
	s_mul_hi_u32 s13, s10, 24
	s_mul_i32 s10, s10, 24
	s_add_i32 s13, s13, s11
	s_waitcnt vmcnt(0)
	v_add_co_u32 v6, vcc_lo, v2, s10
	v_add_co_ci_u32_e64 v7, null, s13, v3, vcc_lo
	global_store_dwordx2 v[6:7], v[11:12], off
	s_waitcnt_vscnt null, 0x0
	global_atomic_cmpswap_x2 v[2:3], v8, v[9:12], s[6:7] offset:24 glc
	s_waitcnt vmcnt(0)
	v_cmp_ne_u64_e32 vcc_lo, v[2:3], v[11:12]
	s_and_b32 exec_lo, exec_lo, vcc_lo
	s_cbranch_execz .LBB7_26
; %bb.24:
	s_mov_b32 s10, 0
.LBB7_25:                               ; =>This Inner Loop Header: Depth=1
	v_mov_b32_e32 v0, s4
	v_mov_b32_e32 v1, s5
	s_sleep 1
	global_store_dwordx2 v[6:7], v[2:3], off
	s_waitcnt_vscnt null, 0x0
	global_atomic_cmpswap_x2 v[0:1], v8, v[0:3], s[6:7] offset:24 glc
	s_waitcnt vmcnt(0)
	v_cmp_eq_u64_e32 vcc_lo, v[0:1], v[2:3]
	v_mov_b32_e32 v3, v1
	v_mov_b32_e32 v2, v0
	s_or_b32 s10, vcc_lo, s10
	s_andn2_b32 exec_lo, exec_lo, s10
	s_cbranch_execnz .LBB7_25
.LBB7_26:
	s_or_b32 exec_lo, exec_lo, s12
	s_getpc_b64 s[10:11]
	s_add_u32 s10, s10, .str.5@rel32@lo+4
	s_addc_u32 s11, s11, .str.5@rel32@hi+12
	s_cmp_lg_u64 s[10:11], 0
	s_cbranch_scc0 .LBB7_104
; %bb.27:
	s_waitcnt vmcnt(0)
	v_and_b32_e32 v30, 2, v4
	v_mov_b32_e32 v7, 0
	v_and_b32_e32 v0, -3, v4
	v_mov_b32_e32 v1, v5
	v_mov_b32_e32 v8, 2
	;; [unrolled: 1-line block ×3, first 2 shown]
	s_mov_b64 s[12:13], 0x4d
	s_branch .LBB7_29
.LBB7_28:                               ;   in Loop: Header=BB7_29 Depth=1
	s_or_b32 exec_lo, exec_lo, s18
	s_sub_u32 s12, s12, s14
	s_subb_u32 s13, s13, s15
	s_add_u32 s10, s10, s14
	s_addc_u32 s11, s11, s15
	s_cmp_lg_u64 s[12:13], 0
	s_cbranch_scc0 .LBB7_105
.LBB7_29:                               ; =>This Loop Header: Depth=1
                                        ;     Child Loop BB7_32 Depth 2
                                        ;     Child Loop BB7_39 Depth 2
	;; [unrolled: 1-line block ×11, first 2 shown]
	v_cmp_lt_u64_e64 s4, s[12:13], 56
	v_cmp_gt_u64_e64 s16, s[12:13], 7
	s_and_b32 s4, s4, exec_lo
	s_cselect_b32 s15, s13, 0
	s_cselect_b32 s14, s12, 56
	s_add_u32 s4, s10, 8
	s_addc_u32 s5, s11, 0
	s_and_b32 vcc_lo, exec_lo, s16
	s_cbranch_vccnz .LBB7_34
; %bb.30:                               ;   in Loop: Header=BB7_29 Depth=1
	v_mov_b32_e32 v2, 0
	v_mov_b32_e32 v3, 0
	s_cmp_eq_u64 s[12:13], 0
	s_cbranch_scc1 .LBB7_33
; %bb.31:                               ;   in Loop: Header=BB7_29 Depth=1
	s_lshl_b64 s[4:5], s[14:15], 3
	s_mov_b64 s[16:17], 0
	s_mov_b64 s[18:19], s[10:11]
.LBB7_32:                               ;   Parent Loop BB7_29 Depth=1
                                        ; =>  This Inner Loop Header: Depth=2
	global_load_ubyte v6, v7, s[18:19]
	s_waitcnt vmcnt(0)
	v_and_b32_e32 v6, 0xffff, v6
	v_lshlrev_b64 v[10:11], s16, v[6:7]
	s_add_u32 s16, s16, 8
	s_addc_u32 s17, s17, 0
	s_add_u32 s18, s18, 1
	s_addc_u32 s19, s19, 0
	s_cmp_lg_u32 s4, s16
	v_or_b32_e32 v2, v10, v2
	v_or_b32_e32 v3, v11, v3
	s_cbranch_scc1 .LBB7_32
.LBB7_33:                               ;   in Loop: Header=BB7_29 Depth=1
	s_mov_b64 s[4:5], s[10:11]
	s_mov_b32 s20, 0
	s_cbranch_execz .LBB7_35
	s_branch .LBB7_36
.LBB7_34:                               ;   in Loop: Header=BB7_29 Depth=1
	s_mov_b32 s20, 0
.LBB7_35:                               ;   in Loop: Header=BB7_29 Depth=1
	global_load_dwordx2 v[2:3], v7, s[10:11]
	s_add_i32 s20, s14, -8
.LBB7_36:                               ;   in Loop: Header=BB7_29 Depth=1
	s_add_u32 s16, s4, 8
	s_addc_u32 s17, s5, 0
	s_cmp_gt_u32 s20, 7
	s_cbranch_scc1 .LBB7_41
; %bb.37:                               ;   in Loop: Header=BB7_29 Depth=1
	v_mov_b32_e32 v10, 0
	v_mov_b32_e32 v11, 0
	s_cmp_eq_u32 s20, 0
	s_cbranch_scc1 .LBB7_40
; %bb.38:                               ;   in Loop: Header=BB7_29 Depth=1
	s_mov_b64 s[16:17], 0
	s_mov_b64 s[18:19], 0
.LBB7_39:                               ;   Parent Loop BB7_29 Depth=1
                                        ; =>  This Inner Loop Header: Depth=2
	s_add_u32 s22, s4, s18
	s_addc_u32 s23, s5, s19
	s_add_u32 s18, s18, 1
	global_load_ubyte v6, v7, s[22:23]
	s_addc_u32 s19, s19, 0
	s_waitcnt vmcnt(0)
	v_and_b32_e32 v6, 0xffff, v6
	v_lshlrev_b64 v[12:13], s16, v[6:7]
	s_add_u32 s16, s16, 8
	s_addc_u32 s17, s17, 0
	s_cmp_lg_u32 s20, s18
	v_or_b32_e32 v10, v12, v10
	v_or_b32_e32 v11, v13, v11
	s_cbranch_scc1 .LBB7_39
.LBB7_40:                               ;   in Loop: Header=BB7_29 Depth=1
	s_mov_b64 s[16:17], s[4:5]
	s_mov_b32 s21, 0
	s_cbranch_execz .LBB7_42
	s_branch .LBB7_43
.LBB7_41:                               ;   in Loop: Header=BB7_29 Depth=1
                                        ; implicit-def: $vgpr10_vgpr11
	s_mov_b32 s21, 0
.LBB7_42:                               ;   in Loop: Header=BB7_29 Depth=1
	global_load_dwordx2 v[10:11], v7, s[4:5]
	s_add_i32 s21, s20, -8
.LBB7_43:                               ;   in Loop: Header=BB7_29 Depth=1
	s_add_u32 s4, s16, 8
	s_addc_u32 s5, s17, 0
	s_cmp_gt_u32 s21, 7
	s_cbranch_scc1 .LBB7_48
; %bb.44:                               ;   in Loop: Header=BB7_29 Depth=1
	v_mov_b32_e32 v12, 0
	v_mov_b32_e32 v13, 0
	s_cmp_eq_u32 s21, 0
	s_cbranch_scc1 .LBB7_47
; %bb.45:                               ;   in Loop: Header=BB7_29 Depth=1
	s_mov_b64 s[4:5], 0
	s_mov_b64 s[18:19], 0
.LBB7_46:                               ;   Parent Loop BB7_29 Depth=1
                                        ; =>  This Inner Loop Header: Depth=2
	s_add_u32 s22, s16, s18
	s_addc_u32 s23, s17, s19
	s_add_u32 s18, s18, 1
	global_load_ubyte v6, v7, s[22:23]
	s_addc_u32 s19, s19, 0
	s_waitcnt vmcnt(0)
	v_and_b32_e32 v6, 0xffff, v6
	v_lshlrev_b64 v[14:15], s4, v[6:7]
	s_add_u32 s4, s4, 8
	s_addc_u32 s5, s5, 0
	s_cmp_lg_u32 s21, s18
	v_or_b32_e32 v12, v14, v12
	v_or_b32_e32 v13, v15, v13
	s_cbranch_scc1 .LBB7_46
.LBB7_47:                               ;   in Loop: Header=BB7_29 Depth=1
	s_mov_b64 s[4:5], s[16:17]
	s_mov_b32 s20, 0
	s_cbranch_execz .LBB7_49
	s_branch .LBB7_50
.LBB7_48:                               ;   in Loop: Header=BB7_29 Depth=1
	s_mov_b32 s20, 0
.LBB7_49:                               ;   in Loop: Header=BB7_29 Depth=1
	global_load_dwordx2 v[12:13], v7, s[16:17]
	s_add_i32 s20, s21, -8
.LBB7_50:                               ;   in Loop: Header=BB7_29 Depth=1
	s_add_u32 s16, s4, 8
	s_addc_u32 s17, s5, 0
	s_cmp_gt_u32 s20, 7
	s_cbranch_scc1 .LBB7_55
; %bb.51:                               ;   in Loop: Header=BB7_29 Depth=1
	v_mov_b32_e32 v14, 0
	v_mov_b32_e32 v15, 0
	s_cmp_eq_u32 s20, 0
	s_cbranch_scc1 .LBB7_54
; %bb.52:                               ;   in Loop: Header=BB7_29 Depth=1
	s_mov_b64 s[16:17], 0
	s_mov_b64 s[18:19], 0
.LBB7_53:                               ;   Parent Loop BB7_29 Depth=1
                                        ; =>  This Inner Loop Header: Depth=2
	s_add_u32 s22, s4, s18
	s_addc_u32 s23, s5, s19
	s_add_u32 s18, s18, 1
	global_load_ubyte v6, v7, s[22:23]
	s_addc_u32 s19, s19, 0
	s_waitcnt vmcnt(0)
	v_and_b32_e32 v6, 0xffff, v6
	v_lshlrev_b64 v[16:17], s16, v[6:7]
	s_add_u32 s16, s16, 8
	s_addc_u32 s17, s17, 0
	s_cmp_lg_u32 s20, s18
	v_or_b32_e32 v14, v16, v14
	v_or_b32_e32 v15, v17, v15
	s_cbranch_scc1 .LBB7_53
.LBB7_54:                               ;   in Loop: Header=BB7_29 Depth=1
	s_mov_b64 s[16:17], s[4:5]
	s_mov_b32 s21, 0
	s_cbranch_execz .LBB7_56
	s_branch .LBB7_57
.LBB7_55:                               ;   in Loop: Header=BB7_29 Depth=1
                                        ; implicit-def: $vgpr14_vgpr15
	s_mov_b32 s21, 0
.LBB7_56:                               ;   in Loop: Header=BB7_29 Depth=1
	global_load_dwordx2 v[14:15], v7, s[4:5]
	s_add_i32 s21, s20, -8
.LBB7_57:                               ;   in Loop: Header=BB7_29 Depth=1
	s_add_u32 s4, s16, 8
	s_addc_u32 s5, s17, 0
	s_cmp_gt_u32 s21, 7
	s_cbranch_scc1 .LBB7_62
; %bb.58:                               ;   in Loop: Header=BB7_29 Depth=1
	v_mov_b32_e32 v16, 0
	v_mov_b32_e32 v17, 0
	s_cmp_eq_u32 s21, 0
	s_cbranch_scc1 .LBB7_61
; %bb.59:                               ;   in Loop: Header=BB7_29 Depth=1
	s_mov_b64 s[4:5], 0
	s_mov_b64 s[18:19], 0
.LBB7_60:                               ;   Parent Loop BB7_29 Depth=1
                                        ; =>  This Inner Loop Header: Depth=2
	s_add_u32 s22, s16, s18
	s_addc_u32 s23, s17, s19
	s_add_u32 s18, s18, 1
	global_load_ubyte v6, v7, s[22:23]
	s_addc_u32 s19, s19, 0
	s_waitcnt vmcnt(0)
	v_and_b32_e32 v6, 0xffff, v6
	v_lshlrev_b64 v[18:19], s4, v[6:7]
	s_add_u32 s4, s4, 8
	s_addc_u32 s5, s5, 0
	s_cmp_lg_u32 s21, s18
	v_or_b32_e32 v16, v18, v16
	v_or_b32_e32 v17, v19, v17
	s_cbranch_scc1 .LBB7_60
.LBB7_61:                               ;   in Loop: Header=BB7_29 Depth=1
	s_mov_b64 s[4:5], s[16:17]
	s_mov_b32 s20, 0
	s_cbranch_execz .LBB7_63
	s_branch .LBB7_64
.LBB7_62:                               ;   in Loop: Header=BB7_29 Depth=1
	s_mov_b32 s20, 0
.LBB7_63:                               ;   in Loop: Header=BB7_29 Depth=1
	global_load_dwordx2 v[16:17], v7, s[16:17]
	s_add_i32 s20, s21, -8
.LBB7_64:                               ;   in Loop: Header=BB7_29 Depth=1
	s_add_u32 s16, s4, 8
	s_addc_u32 s17, s5, 0
	s_cmp_gt_u32 s20, 7
	s_cbranch_scc1 .LBB7_69
; %bb.65:                               ;   in Loop: Header=BB7_29 Depth=1
	v_mov_b32_e32 v18, 0
	v_mov_b32_e32 v19, 0
	s_cmp_eq_u32 s20, 0
	s_cbranch_scc1 .LBB7_68
; %bb.66:                               ;   in Loop: Header=BB7_29 Depth=1
	s_mov_b64 s[16:17], 0
	s_mov_b64 s[18:19], 0
.LBB7_67:                               ;   Parent Loop BB7_29 Depth=1
                                        ; =>  This Inner Loop Header: Depth=2
	s_add_u32 s22, s4, s18
	s_addc_u32 s23, s5, s19
	s_add_u32 s18, s18, 1
	global_load_ubyte v6, v7, s[22:23]
	s_addc_u32 s19, s19, 0
	s_waitcnt vmcnt(0)
	v_and_b32_e32 v6, 0xffff, v6
	v_lshlrev_b64 v[20:21], s16, v[6:7]
	s_add_u32 s16, s16, 8
	s_addc_u32 s17, s17, 0
	s_cmp_lg_u32 s20, s18
	v_or_b32_e32 v18, v20, v18
	v_or_b32_e32 v19, v21, v19
	s_cbranch_scc1 .LBB7_67
.LBB7_68:                               ;   in Loop: Header=BB7_29 Depth=1
	s_mov_b64 s[16:17], s[4:5]
	s_mov_b32 s21, 0
	s_cbranch_execz .LBB7_70
	s_branch .LBB7_71
.LBB7_69:                               ;   in Loop: Header=BB7_29 Depth=1
                                        ; implicit-def: $vgpr18_vgpr19
	s_mov_b32 s21, 0
.LBB7_70:                               ;   in Loop: Header=BB7_29 Depth=1
	global_load_dwordx2 v[18:19], v7, s[4:5]
	s_add_i32 s21, s20, -8
.LBB7_71:                               ;   in Loop: Header=BB7_29 Depth=1
	s_cmp_gt_u32 s21, 7
	s_cbranch_scc1 .LBB7_76
; %bb.72:                               ;   in Loop: Header=BB7_29 Depth=1
	v_mov_b32_e32 v20, 0
	v_mov_b32_e32 v21, 0
	s_cmp_eq_u32 s21, 0
	s_cbranch_scc1 .LBB7_75
; %bb.73:                               ;   in Loop: Header=BB7_29 Depth=1
	s_mov_b64 s[4:5], 0
	s_mov_b64 s[18:19], s[16:17]
.LBB7_74:                               ;   Parent Loop BB7_29 Depth=1
                                        ; =>  This Inner Loop Header: Depth=2
	global_load_ubyte v6, v7, s[18:19]
	s_add_i32 s21, s21, -1
	s_waitcnt vmcnt(0)
	v_and_b32_e32 v6, 0xffff, v6
	v_lshlrev_b64 v[22:23], s4, v[6:7]
	s_add_u32 s4, s4, 8
	s_addc_u32 s5, s5, 0
	s_add_u32 s18, s18, 1
	s_addc_u32 s19, s19, 0
	s_cmp_lg_u32 s21, 0
	v_or_b32_e32 v20, v22, v20
	v_or_b32_e32 v21, v23, v21
	s_cbranch_scc1 .LBB7_74
.LBB7_75:                               ;   in Loop: Header=BB7_29 Depth=1
	s_cbranch_execz .LBB7_77
	s_branch .LBB7_78
.LBB7_76:                               ;   in Loop: Header=BB7_29 Depth=1
.LBB7_77:                               ;   in Loop: Header=BB7_29 Depth=1
	global_load_dwordx2 v[20:21], v7, s[16:17]
.LBB7_78:                               ;   in Loop: Header=BB7_29 Depth=1
	v_readfirstlane_b32 s4, v29
	v_mov_b32_e32 v26, 0
	v_mov_b32_e32 v27, 0
	v_cmp_eq_u32_e64 s4, s4, v29
	s_and_saveexec_b32 s5, s4
	s_cbranch_execz .LBB7_84
; %bb.79:                               ;   in Loop: Header=BB7_29 Depth=1
	global_load_dwordx2 v[24:25], v7, s[6:7] offset:24 glc dlc
	s_waitcnt vmcnt(0)
	buffer_gl1_inv
	buffer_gl0_inv
	s_clause 0x1
	global_load_dwordx2 v[22:23], v7, s[6:7] offset:40
	global_load_dwordx2 v[26:27], v7, s[6:7]
	s_mov_b32 s16, exec_lo
	s_waitcnt vmcnt(1)
	v_and_b32_e32 v6, v23, v25
	v_and_b32_e32 v22, v22, v24
	v_mul_lo_u32 v6, v6, 24
	v_mul_hi_u32 v23, v22, 24
	v_mul_lo_u32 v22, v22, 24
	v_add_nc_u32_e32 v6, v23, v6
	s_waitcnt vmcnt(0)
	v_add_co_u32 v22, vcc_lo, v26, v22
	v_add_co_ci_u32_e64 v23, null, v27, v6, vcc_lo
	global_load_dwordx2 v[22:23], v[22:23], off glc dlc
	s_waitcnt vmcnt(0)
	global_atomic_cmpswap_x2 v[26:27], v7, v[22:25], s[6:7] offset:24 glc
	s_waitcnt vmcnt(0)
	buffer_gl1_inv
	buffer_gl0_inv
	v_cmpx_ne_u64_e64 v[26:27], v[24:25]
	s_cbranch_execz .LBB7_83
; %bb.80:                               ;   in Loop: Header=BB7_29 Depth=1
	s_mov_b32 s17, 0
	.p2align	6
.LBB7_81:                               ;   Parent Loop BB7_29 Depth=1
                                        ; =>  This Inner Loop Header: Depth=2
	s_sleep 1
	s_clause 0x1
	global_load_dwordx2 v[22:23], v7, s[6:7] offset:40
	global_load_dwordx2 v[31:32], v7, s[6:7]
	v_mov_b32_e32 v24, v26
	v_mov_b32_e32 v25, v27
	s_waitcnt vmcnt(1)
	v_and_b32_e32 v6, v22, v24
	v_and_b32_e32 v22, v23, v25
	s_waitcnt vmcnt(0)
	v_mad_u64_u32 v[26:27], null, v6, 24, v[31:32]
	v_mov_b32_e32 v6, v27
	v_mad_u64_u32 v[22:23], null, v22, 24, v[6:7]
	v_mov_b32_e32 v27, v22
	global_load_dwordx2 v[22:23], v[26:27], off glc dlc
	s_waitcnt vmcnt(0)
	global_atomic_cmpswap_x2 v[26:27], v7, v[22:25], s[6:7] offset:24 glc
	s_waitcnt vmcnt(0)
	buffer_gl1_inv
	buffer_gl0_inv
	v_cmp_eq_u64_e32 vcc_lo, v[26:27], v[24:25]
	s_or_b32 s17, vcc_lo, s17
	s_andn2_b32 exec_lo, exec_lo, s17
	s_cbranch_execnz .LBB7_81
; %bb.82:                               ;   in Loop: Header=BB7_29 Depth=1
	s_or_b32 exec_lo, exec_lo, s17
.LBB7_83:                               ;   in Loop: Header=BB7_29 Depth=1
	s_or_b32 exec_lo, exec_lo, s16
.LBB7_84:                               ;   in Loop: Header=BB7_29 Depth=1
	s_or_b32 exec_lo, exec_lo, s5
	s_clause 0x1
	global_load_dwordx2 v[31:32], v7, s[6:7] offset:40
	global_load_dwordx4 v[22:25], v7, s[6:7]
	v_readfirstlane_b32 s17, v27
	v_readfirstlane_b32 s16, v26
	s_mov_b32 s5, exec_lo
	s_waitcnt vmcnt(1)
	v_readfirstlane_b32 s18, v31
	v_readfirstlane_b32 s19, v32
	s_and_b64 s[18:19], s[18:19], s[16:17]
	s_mul_i32 s20, s19, 24
	s_mul_hi_u32 s21, s18, 24
	s_mul_i32 s22, s18, 24
	s_add_i32 s21, s21, s20
	s_waitcnt vmcnt(0)
	v_add_co_u32 v26, vcc_lo, v22, s22
	v_add_co_ci_u32_e64 v27, null, s21, v23, vcc_lo
	s_and_saveexec_b32 s20, s4
	s_cbranch_execz .LBB7_86
; %bb.85:                               ;   in Loop: Header=BB7_29 Depth=1
	v_mov_b32_e32 v6, s5
	global_store_dwordx4 v[26:27], v[6:9], off offset:8
.LBB7_86:                               ;   in Loop: Header=BB7_29 Depth=1
	s_or_b32 exec_lo, exec_lo, s20
	v_cmp_lt_u64_e64 vcc_lo, s[12:13], 57
	s_lshl_b64 s[18:19], s[18:19], 12
	v_and_b32_e32 v0, 0xffffff1f, v0
	s_lshl_b32 s5, s14, 2
	s_add_i32 s5, s5, 28
	v_cndmask_b32_e32 v6, 0, v30, vcc_lo
	v_add_co_u32 v24, vcc_lo, v24, s18
	v_add_co_ci_u32_e64 v25, null, s19, v25, vcc_lo
	v_or_b32_e32 v0, v0, v6
	v_readfirstlane_b32 s18, v24
	v_readfirstlane_b32 s19, v25
	v_and_or_b32 v0, 0x1e0, s5, v0
	global_store_dwordx4 v28, v[10:13], s[18:19] offset:16
	global_store_dwordx4 v28, v[0:3], s[18:19]
	global_store_dwordx4 v28, v[14:17], s[18:19] offset:32
	global_store_dwordx4 v28, v[18:21], s[18:19] offset:48
	s_and_saveexec_b32 s5, s4
	s_cbranch_execz .LBB7_94
; %bb.87:                               ;   in Loop: Header=BB7_29 Depth=1
	s_clause 0x1
	global_load_dwordx2 v[14:15], v7, s[6:7] offset:32 glc dlc
	global_load_dwordx2 v[0:1], v7, s[6:7] offset:40
	v_mov_b32_e32 v12, s16
	v_mov_b32_e32 v13, s17
	s_waitcnt vmcnt(0)
	v_readfirstlane_b32 s18, v0
	v_readfirstlane_b32 s19, v1
	s_and_b64 s[18:19], s[18:19], s[16:17]
	s_mul_i32 s19, s19, 24
	s_mul_hi_u32 s20, s18, 24
	s_mul_i32 s18, s18, 24
	s_add_i32 s20, s20, s19
	v_add_co_u32 v10, vcc_lo, v22, s18
	v_add_co_ci_u32_e64 v11, null, s20, v23, vcc_lo
	s_mov_b32 s18, exec_lo
	global_store_dwordx2 v[10:11], v[14:15], off
	s_waitcnt_vscnt null, 0x0
	global_atomic_cmpswap_x2 v[2:3], v7, v[12:15], s[6:7] offset:32 glc
	s_waitcnt vmcnt(0)
	v_cmpx_ne_u64_e64 v[2:3], v[14:15]
	s_cbranch_execz .LBB7_90
; %bb.88:                               ;   in Loop: Header=BB7_29 Depth=1
	s_mov_b32 s19, 0
.LBB7_89:                               ;   Parent Loop BB7_29 Depth=1
                                        ; =>  This Inner Loop Header: Depth=2
	v_mov_b32_e32 v0, s16
	v_mov_b32_e32 v1, s17
	s_sleep 1
	global_store_dwordx2 v[10:11], v[2:3], off
	s_waitcnt_vscnt null, 0x0
	global_atomic_cmpswap_x2 v[0:1], v7, v[0:3], s[6:7] offset:32 glc
	s_waitcnt vmcnt(0)
	v_cmp_eq_u64_e32 vcc_lo, v[0:1], v[2:3]
	v_mov_b32_e32 v3, v1
	v_mov_b32_e32 v2, v0
	s_or_b32 s19, vcc_lo, s19
	s_andn2_b32 exec_lo, exec_lo, s19
	s_cbranch_execnz .LBB7_89
.LBB7_90:                               ;   in Loop: Header=BB7_29 Depth=1
	s_or_b32 exec_lo, exec_lo, s18
	global_load_dwordx2 v[0:1], v7, s[6:7] offset:16
	s_mov_b32 s19, exec_lo
	s_mov_b32 s18, exec_lo
	v_mbcnt_lo_u32_b32 v2, s19, 0
	v_cmpx_eq_u32_e32 0, v2
	s_cbranch_execz .LBB7_92
; %bb.91:                               ;   in Loop: Header=BB7_29 Depth=1
	s_bcnt1_i32_b32 s19, s19
	v_mov_b32_e32 v6, s19
	s_waitcnt vmcnt(0)
	global_atomic_add_x2 v[0:1], v[6:7], off offset:8
.LBB7_92:                               ;   in Loop: Header=BB7_29 Depth=1
	s_or_b32 exec_lo, exec_lo, s18
	s_waitcnt vmcnt(0)
	global_load_dwordx2 v[2:3], v[0:1], off offset:16
	s_waitcnt vmcnt(0)
	v_cmp_eq_u64_e32 vcc_lo, 0, v[2:3]
	s_cbranch_vccnz .LBB7_94
; %bb.93:                               ;   in Loop: Header=BB7_29 Depth=1
	global_load_dword v6, v[0:1], off offset:24
	s_waitcnt vmcnt(0)
	v_readfirstlane_b32 s18, v6
	s_waitcnt_vscnt null, 0x0
	global_store_dwordx2 v[2:3], v[6:7], off
	s_and_b32 m0, s18, 0x7fffff
	s_sendmsg sendmsg(MSG_INTERRUPT)
.LBB7_94:                               ;   in Loop: Header=BB7_29 Depth=1
	s_or_b32 exec_lo, exec_lo, s5
	v_add_co_u32 v0, vcc_lo, v24, v28
	v_add_co_ci_u32_e64 v1, null, 0, v25, vcc_lo
	s_branch .LBB7_98
	.p2align	6
.LBB7_95:                               ;   in Loop: Header=BB7_98 Depth=2
	s_or_b32 exec_lo, exec_lo, s5
	v_readfirstlane_b32 s5, v2
	s_cmp_eq_u32 s5, 0
	s_cbranch_scc1 .LBB7_97
; %bb.96:                               ;   in Loop: Header=BB7_98 Depth=2
	s_sleep 1
	s_cbranch_execnz .LBB7_98
	s_branch .LBB7_100
	.p2align	6
.LBB7_97:                               ;   in Loop: Header=BB7_29 Depth=1
	s_branch .LBB7_100
.LBB7_98:                               ;   Parent Loop BB7_29 Depth=1
                                        ; =>  This Inner Loop Header: Depth=2
	v_mov_b32_e32 v2, 1
	s_and_saveexec_b32 s5, s4
	s_cbranch_execz .LBB7_95
; %bb.99:                               ;   in Loop: Header=BB7_98 Depth=2
	global_load_dword v2, v[26:27], off offset:20 glc dlc
	s_waitcnt vmcnt(0)
	buffer_gl1_inv
	buffer_gl0_inv
	v_and_b32_e32 v2, 1, v2
	s_branch .LBB7_95
.LBB7_100:                              ;   in Loop: Header=BB7_29 Depth=1
	global_load_dwordx2 v[0:1], v[0:1], off
	s_and_saveexec_b32 s18, s4
	s_cbranch_execz .LBB7_28
; %bb.101:                              ;   in Loop: Header=BB7_29 Depth=1
	s_clause 0x2
	global_load_dwordx2 v[2:3], v7, s[6:7] offset:40
	global_load_dwordx2 v[14:15], v7, s[6:7] offset:24 glc dlc
	global_load_dwordx2 v[10:11], v7, s[6:7]
	s_waitcnt vmcnt(2)
	v_readfirstlane_b32 s20, v2
	v_readfirstlane_b32 s21, v3
	s_add_u32 s19, s20, 1
	s_addc_u32 s22, s21, 0
	s_add_u32 s4, s19, s16
	s_addc_u32 s5, s22, s17
	s_cmp_eq_u64 s[4:5], 0
	s_cselect_b32 s5, s22, s5
	s_cselect_b32 s4, s19, s4
	v_mov_b32_e32 v13, s5
	s_and_b64 s[16:17], s[4:5], s[20:21]
	v_mov_b32_e32 v12, s4
	s_mul_i32 s17, s17, 24
	s_mul_hi_u32 s19, s16, 24
	s_mul_i32 s16, s16, 24
	s_add_i32 s19, s19, s17
	s_waitcnt vmcnt(0)
	v_add_co_u32 v2, vcc_lo, v10, s16
	v_add_co_ci_u32_e64 v3, null, s19, v11, vcc_lo
	global_store_dwordx2 v[2:3], v[14:15], off
	s_waitcnt_vscnt null, 0x0
	global_atomic_cmpswap_x2 v[12:13], v7, v[12:15], s[6:7] offset:24 glc
	s_waitcnt vmcnt(0)
	v_cmp_ne_u64_e32 vcc_lo, v[12:13], v[14:15]
	s_and_b32 exec_lo, exec_lo, vcc_lo
	s_cbranch_execz .LBB7_28
; %bb.102:                              ;   in Loop: Header=BB7_29 Depth=1
	s_mov_b32 s16, 0
.LBB7_103:                              ;   Parent Loop BB7_29 Depth=1
                                        ; =>  This Inner Loop Header: Depth=2
	v_mov_b32_e32 v10, s4
	v_mov_b32_e32 v11, s5
	s_sleep 1
	global_store_dwordx2 v[2:3], v[12:13], off
	s_waitcnt_vscnt null, 0x0
	global_atomic_cmpswap_x2 v[10:11], v7, v[10:13], s[6:7] offset:24 glc
	s_waitcnt vmcnt(0)
	v_cmp_eq_u64_e32 vcc_lo, v[10:11], v[12:13]
	v_mov_b32_e32 v13, v11
	v_mov_b32_e32 v12, v10
	s_or_b32 s16, vcc_lo, s16
	s_andn2_b32 exec_lo, exec_lo, s16
	s_cbranch_execnz .LBB7_103
	s_branch .LBB7_28
.LBB7_104:
                                        ; implicit-def: $vgpr0_vgpr1
	s_cbranch_execnz .LBB7_106
	s_branch .LBB7_133
.LBB7_105:
	s_branch .LBB7_133
.LBB7_106:
	v_readfirstlane_b32 s4, v29
	v_mov_b32_e32 v7, 0
	v_mov_b32_e32 v8, 0
	v_cmp_eq_u32_e64 s4, s4, v29
	s_and_saveexec_b32 s5, s4
	s_cbranch_execz .LBB7_112
; %bb.107:
	s_waitcnt vmcnt(0)
	v_mov_b32_e32 v0, 0
	s_mov_b32 s10, exec_lo
	global_load_dwordx2 v[9:10], v0, s[6:7] offset:24 glc dlc
	s_waitcnt vmcnt(0)
	buffer_gl1_inv
	buffer_gl0_inv
	s_clause 0x1
	global_load_dwordx2 v[1:2], v0, s[6:7] offset:40
	global_load_dwordx2 v[6:7], v0, s[6:7]
	s_waitcnt vmcnt(1)
	v_and_b32_e32 v2, v2, v10
	v_and_b32_e32 v1, v1, v9
	v_mul_lo_u32 v2, v2, 24
	v_mul_hi_u32 v3, v1, 24
	v_mul_lo_u32 v1, v1, 24
	v_add_nc_u32_e32 v2, v3, v2
	s_waitcnt vmcnt(0)
	v_add_co_u32 v1, vcc_lo, v6, v1
	v_add_co_ci_u32_e64 v2, null, v7, v2, vcc_lo
	global_load_dwordx2 v[7:8], v[1:2], off glc dlc
	s_waitcnt vmcnt(0)
	global_atomic_cmpswap_x2 v[7:8], v0, v[7:10], s[6:7] offset:24 glc
	s_waitcnt vmcnt(0)
	buffer_gl1_inv
	buffer_gl0_inv
	v_cmpx_ne_u64_e64 v[7:8], v[9:10]
	s_cbranch_execz .LBB7_111
; %bb.108:
	s_mov_b32 s11, 0
	.p2align	6
.LBB7_109:                              ; =>This Inner Loop Header: Depth=1
	s_sleep 1
	s_clause 0x1
	global_load_dwordx2 v[1:2], v0, s[6:7] offset:40
	global_load_dwordx2 v[11:12], v0, s[6:7]
	v_mov_b32_e32 v10, v8
	v_mov_b32_e32 v9, v7
	s_waitcnt vmcnt(1)
	v_and_b32_e32 v1, v1, v9
	v_and_b32_e32 v2, v2, v10
	s_waitcnt vmcnt(0)
	v_mad_u64_u32 v[6:7], null, v1, 24, v[11:12]
	v_mov_b32_e32 v1, v7
	v_mad_u64_u32 v[1:2], null, v2, 24, v[1:2]
	v_mov_b32_e32 v7, v1
	global_load_dwordx2 v[7:8], v[6:7], off glc dlc
	s_waitcnt vmcnt(0)
	global_atomic_cmpswap_x2 v[7:8], v0, v[7:10], s[6:7] offset:24 glc
	s_waitcnt vmcnt(0)
	buffer_gl1_inv
	buffer_gl0_inv
	v_cmp_eq_u64_e32 vcc_lo, v[7:8], v[9:10]
	s_or_b32 s11, vcc_lo, s11
	s_andn2_b32 exec_lo, exec_lo, s11
	s_cbranch_execnz .LBB7_109
; %bb.110:
	s_or_b32 exec_lo, exec_lo, s11
.LBB7_111:
	s_or_b32 exec_lo, exec_lo, s10
.LBB7_112:
	s_or_b32 exec_lo, exec_lo, s5
	v_mov_b32_e32 v6, 0
	v_readfirstlane_b32 s11, v8
	v_readfirstlane_b32 s10, v7
	s_mov_b32 s5, exec_lo
	s_clause 0x1
	global_load_dwordx2 v[9:10], v6, s[6:7] offset:40
	global_load_dwordx4 v[0:3], v6, s[6:7]
	s_waitcnt vmcnt(1)
	v_readfirstlane_b32 s12, v9
	v_readfirstlane_b32 s13, v10
	s_and_b64 s[12:13], s[12:13], s[10:11]
	s_mul_i32 s14, s13, 24
	s_mul_hi_u32 s15, s12, 24
	s_mul_i32 s16, s12, 24
	s_add_i32 s15, s15, s14
	s_waitcnt vmcnt(0)
	v_add_co_u32 v8, vcc_lo, v0, s16
	v_add_co_ci_u32_e64 v9, null, s15, v1, vcc_lo
	s_and_saveexec_b32 s14, s4
	s_cbranch_execz .LBB7_114
; %bb.113:
	v_mov_b32_e32 v10, s5
	v_mov_b32_e32 v11, v6
	v_mov_b32_e32 v12, 2
	v_mov_b32_e32 v13, 1
	global_store_dwordx4 v[8:9], v[10:13], off offset:8
.LBB7_114:
	s_or_b32 exec_lo, exec_lo, s14
	s_lshl_b64 s[12:13], s[12:13], 12
	v_and_or_b32 v4, 0xffffff1f, v4, 32
	v_add_co_u32 v2, vcc_lo, v2, s12
	v_add_co_ci_u32_e64 v3, null, s13, v3, vcc_lo
	s_mov_b32 s12, 0
	v_add_co_u32 v10, vcc_lo, v2, v28
	s_mov_b32 s13, s12
	s_mov_b32 s14, s12
	s_mov_b32 s15, s12
	v_mov_b32_e32 v7, v6
	v_readfirstlane_b32 s16, v2
	v_readfirstlane_b32 s17, v3
	v_mov_b32_e32 v12, s12
	v_add_co_ci_u32_e64 v11, null, 0, v3, vcc_lo
	v_mov_b32_e32 v13, s13
	v_mov_b32_e32 v14, s14
	v_mov_b32_e32 v15, s15
	global_store_dwordx4 v28, v[4:7], s[16:17]
	global_store_dwordx4 v28, v[12:15], s[16:17] offset:16
	global_store_dwordx4 v28, v[12:15], s[16:17] offset:32
	;; [unrolled: 1-line block ×3, first 2 shown]
	s_and_saveexec_b32 s5, s4
	s_cbranch_execz .LBB7_122
; %bb.115:
	v_mov_b32_e32 v6, 0
	v_mov_b32_e32 v12, s10
	;; [unrolled: 1-line block ×3, first 2 shown]
	s_clause 0x1
	global_load_dwordx2 v[14:15], v6, s[6:7] offset:32 glc dlc
	global_load_dwordx2 v[2:3], v6, s[6:7] offset:40
	s_waitcnt vmcnt(0)
	v_readfirstlane_b32 s12, v2
	v_readfirstlane_b32 s13, v3
	s_and_b64 s[12:13], s[12:13], s[10:11]
	s_mul_i32 s13, s13, 24
	s_mul_hi_u32 s14, s12, 24
	s_mul_i32 s12, s12, 24
	s_add_i32 s14, s14, s13
	v_add_co_u32 v4, vcc_lo, v0, s12
	v_add_co_ci_u32_e64 v5, null, s14, v1, vcc_lo
	s_mov_b32 s12, exec_lo
	global_store_dwordx2 v[4:5], v[14:15], off
	s_waitcnt_vscnt null, 0x0
	global_atomic_cmpswap_x2 v[2:3], v6, v[12:15], s[6:7] offset:32 glc
	s_waitcnt vmcnt(0)
	v_cmpx_ne_u64_e64 v[2:3], v[14:15]
	s_cbranch_execz .LBB7_118
; %bb.116:
	s_mov_b32 s13, 0
.LBB7_117:                              ; =>This Inner Loop Header: Depth=1
	v_mov_b32_e32 v0, s10
	v_mov_b32_e32 v1, s11
	s_sleep 1
	global_store_dwordx2 v[4:5], v[2:3], off
	s_waitcnt_vscnt null, 0x0
	global_atomic_cmpswap_x2 v[0:1], v6, v[0:3], s[6:7] offset:32 glc
	s_waitcnt vmcnt(0)
	v_cmp_eq_u64_e32 vcc_lo, v[0:1], v[2:3]
	v_mov_b32_e32 v3, v1
	v_mov_b32_e32 v2, v0
	s_or_b32 s13, vcc_lo, s13
	s_andn2_b32 exec_lo, exec_lo, s13
	s_cbranch_execnz .LBB7_117
.LBB7_118:
	s_or_b32 exec_lo, exec_lo, s12
	v_mov_b32_e32 v3, 0
	s_mov_b32 s13, exec_lo
	s_mov_b32 s12, exec_lo
	v_mbcnt_lo_u32_b32 v2, s13, 0
	global_load_dwordx2 v[0:1], v3, s[6:7] offset:16
	v_cmpx_eq_u32_e32 0, v2
	s_cbranch_execz .LBB7_120
; %bb.119:
	s_bcnt1_i32_b32 s13, s13
	v_mov_b32_e32 v2, s13
	s_waitcnt vmcnt(0)
	global_atomic_add_x2 v[0:1], v[2:3], off offset:8
.LBB7_120:
	s_or_b32 exec_lo, exec_lo, s12
	s_waitcnt vmcnt(0)
	global_load_dwordx2 v[2:3], v[0:1], off offset:16
	s_waitcnt vmcnt(0)
	v_cmp_eq_u64_e32 vcc_lo, 0, v[2:3]
	s_cbranch_vccnz .LBB7_122
; %bb.121:
	global_load_dword v0, v[0:1], off offset:24
	v_mov_b32_e32 v1, 0
	s_waitcnt vmcnt(0)
	v_readfirstlane_b32 s12, v0
	s_waitcnt_vscnt null, 0x0
	global_store_dwordx2 v[2:3], v[0:1], off
	s_and_b32 m0, s12, 0x7fffff
	s_sendmsg sendmsg(MSG_INTERRUPT)
.LBB7_122:
	s_or_b32 exec_lo, exec_lo, s5
	s_branch .LBB7_126
	.p2align	6
.LBB7_123:                              ;   in Loop: Header=BB7_126 Depth=1
	s_or_b32 exec_lo, exec_lo, s5
	v_readfirstlane_b32 s5, v0
	s_cmp_eq_u32 s5, 0
	s_cbranch_scc1 .LBB7_125
; %bb.124:                              ;   in Loop: Header=BB7_126 Depth=1
	s_sleep 1
	s_cbranch_execnz .LBB7_126
	s_branch .LBB7_128
	.p2align	6
.LBB7_125:
	s_branch .LBB7_128
.LBB7_126:                              ; =>This Inner Loop Header: Depth=1
	v_mov_b32_e32 v0, 1
	s_and_saveexec_b32 s5, s4
	s_cbranch_execz .LBB7_123
; %bb.127:                              ;   in Loop: Header=BB7_126 Depth=1
	global_load_dword v0, v[8:9], off offset:20 glc dlc
	s_waitcnt vmcnt(0)
	buffer_gl1_inv
	buffer_gl0_inv
	v_and_b32_e32 v0, 1, v0
	s_branch .LBB7_123
.LBB7_128:
	global_load_dwordx2 v[0:1], v[10:11], off
	s_and_saveexec_b32 s12, s4
	s_cbranch_execz .LBB7_132
; %bb.129:
	v_mov_b32_e32 v8, 0
	s_clause 0x2
	global_load_dwordx2 v[2:3], v8, s[6:7] offset:40
	global_load_dwordx2 v[11:12], v8, s[6:7] offset:24 glc dlc
	global_load_dwordx2 v[4:5], v8, s[6:7]
	s_waitcnt vmcnt(2)
	v_readfirstlane_b32 s14, v2
	v_readfirstlane_b32 s15, v3
	s_add_u32 s13, s14, 1
	s_addc_u32 s16, s15, 0
	s_add_u32 s4, s13, s10
	s_addc_u32 s5, s16, s11
	s_cmp_eq_u64 s[4:5], 0
	s_cselect_b32 s5, s16, s5
	s_cselect_b32 s4, s13, s4
	v_mov_b32_e32 v10, s5
	s_and_b64 s[10:11], s[4:5], s[14:15]
	v_mov_b32_e32 v9, s4
	s_mul_i32 s11, s11, 24
	s_mul_hi_u32 s13, s10, 24
	s_mul_i32 s10, s10, 24
	s_add_i32 s13, s13, s11
	s_waitcnt vmcnt(0)
	v_add_co_u32 v6, vcc_lo, v4, s10
	v_add_co_ci_u32_e64 v7, null, s13, v5, vcc_lo
	global_store_dwordx2 v[6:7], v[11:12], off
	s_waitcnt_vscnt null, 0x0
	global_atomic_cmpswap_x2 v[4:5], v8, v[9:12], s[6:7] offset:24 glc
	s_waitcnt vmcnt(0)
	v_cmp_ne_u64_e32 vcc_lo, v[4:5], v[11:12]
	s_and_b32 exec_lo, exec_lo, vcc_lo
	s_cbranch_execz .LBB7_132
; %bb.130:
	s_mov_b32 s10, 0
.LBB7_131:                              ; =>This Inner Loop Header: Depth=1
	v_mov_b32_e32 v2, s4
	v_mov_b32_e32 v3, s5
	s_sleep 1
	global_store_dwordx2 v[6:7], v[4:5], off
	s_waitcnt_vscnt null, 0x0
	global_atomic_cmpswap_x2 v[2:3], v8, v[2:5], s[6:7] offset:24 glc
	s_waitcnt vmcnt(0)
	v_cmp_eq_u64_e32 vcc_lo, v[2:3], v[4:5]
	v_mov_b32_e32 v5, v3
	v_mov_b32_e32 v4, v2
	s_or_b32 s10, vcc_lo, s10
	s_andn2_b32 exec_lo, exec_lo, s10
	s_cbranch_execnz .LBB7_131
.LBB7_132:
	s_or_b32 exec_lo, exec_lo, s12
.LBB7_133:
	s_getpc_b64 s[4:5]
	s_add_u32 s4, s4, .str.3@rel32@lo+4
	s_addc_u32 s5, s5, .str.3@rel32@hi+12
	s_mov_b64 s[10:11], 0
	s_cmp_lg_u64 s[4:5], 0
	s_cselect_b32 s12, -1, 0
	s_cmp_eq_u64 s[4:5], 0
	s_cbranch_scc1 .LBB7_137
; %bb.134:
	v_mov_b32_e32 v2, 0
	s_getpc_b64 s[4:5]
	s_add_u32 s4, s4, .str.3@rel32@lo+3
	s_addc_u32 s5, s5, .str.3@rel32@hi+11
.LBB7_135:                              ; =>This Inner Loop Header: Depth=1
	global_load_ubyte v3, v2, s[4:5] offset:1
	s_add_u32 s10, s4, 1
	s_addc_u32 s11, s5, 0
	s_mov_b64 s[4:5], s[10:11]
	s_waitcnt vmcnt(0)
	v_cmp_ne_u32_e32 vcc_lo, 0, v3
	s_cbranch_vccnz .LBB7_135
; %bb.136:
	s_getpc_b64 s[4:5]
	s_add_u32 s4, s4, .str.3@rel32@lo+4
	s_addc_u32 s5, s5, .str.3@rel32@hi+12
	s_sub_u32 s4, s10, s4
	s_subb_u32 s5, s11, s5
	s_add_u32 s10, s4, 1
	s_addc_u32 s11, s5, 0
.LBB7_137:
	s_and_b32 vcc_lo, exec_lo, s12
	s_cbranch_vccz .LBB7_215
; %bb.138:
	s_waitcnt vmcnt(0)
	v_and_b32_e32 v30, 2, v0
	v_mov_b32_e32 v7, 0
	v_and_b32_e32 v2, -3, v0
	v_mov_b32_e32 v3, v1
	v_mov_b32_e32 v8, 2
	;; [unrolled: 1-line block ×3, first 2 shown]
	s_getpc_b64 s[12:13]
	s_add_u32 s12, s12, .str.3@rel32@lo+4
	s_addc_u32 s13, s13, .str.3@rel32@hi+12
	s_branch .LBB7_140
.LBB7_139:                              ;   in Loop: Header=BB7_140 Depth=1
	s_or_b32 exec_lo, exec_lo, s18
	s_sub_u32 s10, s10, s14
	s_subb_u32 s11, s11, s15
	s_add_u32 s12, s12, s14
	s_addc_u32 s13, s13, s15
	s_cmp_lg_u64 s[10:11], 0
	s_cbranch_scc0 .LBB7_216
.LBB7_140:                              ; =>This Loop Header: Depth=1
                                        ;     Child Loop BB7_143 Depth 2
                                        ;     Child Loop BB7_150 Depth 2
	;; [unrolled: 1-line block ×11, first 2 shown]
	v_cmp_lt_u64_e64 s4, s[10:11], 56
	v_cmp_gt_u64_e64 s16, s[10:11], 7
	s_and_b32 s4, s4, exec_lo
	s_cselect_b32 s15, s11, 0
	s_cselect_b32 s14, s10, 56
	s_add_u32 s4, s12, 8
	s_addc_u32 s5, s13, 0
	s_and_b32 vcc_lo, exec_lo, s16
	s_cbranch_vccnz .LBB7_145
; %bb.141:                              ;   in Loop: Header=BB7_140 Depth=1
	v_mov_b32_e32 v4, 0
	v_mov_b32_e32 v5, 0
	s_cmp_eq_u64 s[10:11], 0
	s_cbranch_scc1 .LBB7_144
; %bb.142:                              ;   in Loop: Header=BB7_140 Depth=1
	s_lshl_b64 s[4:5], s[14:15], 3
	s_mov_b64 s[16:17], 0
	s_mov_b64 s[18:19], s[12:13]
.LBB7_143:                              ;   Parent Loop BB7_140 Depth=1
                                        ; =>  This Inner Loop Header: Depth=2
	global_load_ubyte v6, v7, s[18:19]
	s_waitcnt vmcnt(0)
	v_and_b32_e32 v6, 0xffff, v6
	v_lshlrev_b64 v[10:11], s16, v[6:7]
	s_add_u32 s16, s16, 8
	s_addc_u32 s17, s17, 0
	s_add_u32 s18, s18, 1
	s_addc_u32 s19, s19, 0
	s_cmp_lg_u32 s4, s16
	v_or_b32_e32 v4, v10, v4
	v_or_b32_e32 v5, v11, v5
	s_cbranch_scc1 .LBB7_143
.LBB7_144:                              ;   in Loop: Header=BB7_140 Depth=1
	s_mov_b64 s[4:5], s[12:13]
	s_mov_b32 s20, 0
	s_cbranch_execz .LBB7_146
	s_branch .LBB7_147
.LBB7_145:                              ;   in Loop: Header=BB7_140 Depth=1
	s_mov_b32 s20, 0
.LBB7_146:                              ;   in Loop: Header=BB7_140 Depth=1
	global_load_dwordx2 v[4:5], v7, s[12:13]
	s_add_i32 s20, s14, -8
.LBB7_147:                              ;   in Loop: Header=BB7_140 Depth=1
	s_add_u32 s16, s4, 8
	s_addc_u32 s17, s5, 0
	s_cmp_gt_u32 s20, 7
	s_cbranch_scc1 .LBB7_152
; %bb.148:                              ;   in Loop: Header=BB7_140 Depth=1
	v_mov_b32_e32 v10, 0
	v_mov_b32_e32 v11, 0
	s_cmp_eq_u32 s20, 0
	s_cbranch_scc1 .LBB7_151
; %bb.149:                              ;   in Loop: Header=BB7_140 Depth=1
	s_mov_b64 s[16:17], 0
	s_mov_b64 s[18:19], 0
.LBB7_150:                              ;   Parent Loop BB7_140 Depth=1
                                        ; =>  This Inner Loop Header: Depth=2
	s_add_u32 s22, s4, s18
	s_addc_u32 s23, s5, s19
	s_add_u32 s18, s18, 1
	global_load_ubyte v6, v7, s[22:23]
	s_addc_u32 s19, s19, 0
	s_waitcnt vmcnt(0)
	v_and_b32_e32 v6, 0xffff, v6
	v_lshlrev_b64 v[12:13], s16, v[6:7]
	s_add_u32 s16, s16, 8
	s_addc_u32 s17, s17, 0
	s_cmp_lg_u32 s20, s18
	v_or_b32_e32 v10, v12, v10
	v_or_b32_e32 v11, v13, v11
	s_cbranch_scc1 .LBB7_150
.LBB7_151:                              ;   in Loop: Header=BB7_140 Depth=1
	s_mov_b64 s[16:17], s[4:5]
	s_mov_b32 s21, 0
	s_cbranch_execz .LBB7_153
	s_branch .LBB7_154
.LBB7_152:                              ;   in Loop: Header=BB7_140 Depth=1
                                        ; implicit-def: $vgpr10_vgpr11
	s_mov_b32 s21, 0
.LBB7_153:                              ;   in Loop: Header=BB7_140 Depth=1
	global_load_dwordx2 v[10:11], v7, s[4:5]
	s_add_i32 s21, s20, -8
.LBB7_154:                              ;   in Loop: Header=BB7_140 Depth=1
	s_add_u32 s4, s16, 8
	s_addc_u32 s5, s17, 0
	s_cmp_gt_u32 s21, 7
	s_cbranch_scc1 .LBB7_159
; %bb.155:                              ;   in Loop: Header=BB7_140 Depth=1
	v_mov_b32_e32 v12, 0
	v_mov_b32_e32 v13, 0
	s_cmp_eq_u32 s21, 0
	s_cbranch_scc1 .LBB7_158
; %bb.156:                              ;   in Loop: Header=BB7_140 Depth=1
	s_mov_b64 s[4:5], 0
	s_mov_b64 s[18:19], 0
.LBB7_157:                              ;   Parent Loop BB7_140 Depth=1
                                        ; =>  This Inner Loop Header: Depth=2
	s_add_u32 s22, s16, s18
	s_addc_u32 s23, s17, s19
	s_add_u32 s18, s18, 1
	global_load_ubyte v6, v7, s[22:23]
	s_addc_u32 s19, s19, 0
	s_waitcnt vmcnt(0)
	v_and_b32_e32 v6, 0xffff, v6
	v_lshlrev_b64 v[14:15], s4, v[6:7]
	s_add_u32 s4, s4, 8
	s_addc_u32 s5, s5, 0
	s_cmp_lg_u32 s21, s18
	v_or_b32_e32 v12, v14, v12
	v_or_b32_e32 v13, v15, v13
	s_cbranch_scc1 .LBB7_157
.LBB7_158:                              ;   in Loop: Header=BB7_140 Depth=1
	s_mov_b64 s[4:5], s[16:17]
	s_mov_b32 s20, 0
	s_cbranch_execz .LBB7_160
	s_branch .LBB7_161
.LBB7_159:                              ;   in Loop: Header=BB7_140 Depth=1
	s_mov_b32 s20, 0
.LBB7_160:                              ;   in Loop: Header=BB7_140 Depth=1
	global_load_dwordx2 v[12:13], v7, s[16:17]
	s_add_i32 s20, s21, -8
.LBB7_161:                              ;   in Loop: Header=BB7_140 Depth=1
	s_add_u32 s16, s4, 8
	s_addc_u32 s17, s5, 0
	s_cmp_gt_u32 s20, 7
	s_cbranch_scc1 .LBB7_166
; %bb.162:                              ;   in Loop: Header=BB7_140 Depth=1
	v_mov_b32_e32 v14, 0
	v_mov_b32_e32 v15, 0
	s_cmp_eq_u32 s20, 0
	s_cbranch_scc1 .LBB7_165
; %bb.163:                              ;   in Loop: Header=BB7_140 Depth=1
	s_mov_b64 s[16:17], 0
	s_mov_b64 s[18:19], 0
.LBB7_164:                              ;   Parent Loop BB7_140 Depth=1
                                        ; =>  This Inner Loop Header: Depth=2
	s_add_u32 s22, s4, s18
	s_addc_u32 s23, s5, s19
	s_add_u32 s18, s18, 1
	global_load_ubyte v6, v7, s[22:23]
	s_addc_u32 s19, s19, 0
	s_waitcnt vmcnt(0)
	v_and_b32_e32 v6, 0xffff, v6
	v_lshlrev_b64 v[16:17], s16, v[6:7]
	s_add_u32 s16, s16, 8
	s_addc_u32 s17, s17, 0
	s_cmp_lg_u32 s20, s18
	v_or_b32_e32 v14, v16, v14
	v_or_b32_e32 v15, v17, v15
	s_cbranch_scc1 .LBB7_164
.LBB7_165:                              ;   in Loop: Header=BB7_140 Depth=1
	s_mov_b64 s[16:17], s[4:5]
	s_mov_b32 s21, 0
	s_cbranch_execz .LBB7_167
	s_branch .LBB7_168
.LBB7_166:                              ;   in Loop: Header=BB7_140 Depth=1
                                        ; implicit-def: $vgpr14_vgpr15
	s_mov_b32 s21, 0
.LBB7_167:                              ;   in Loop: Header=BB7_140 Depth=1
	global_load_dwordx2 v[14:15], v7, s[4:5]
	s_add_i32 s21, s20, -8
.LBB7_168:                              ;   in Loop: Header=BB7_140 Depth=1
	s_add_u32 s4, s16, 8
	s_addc_u32 s5, s17, 0
	s_cmp_gt_u32 s21, 7
	s_cbranch_scc1 .LBB7_173
; %bb.169:                              ;   in Loop: Header=BB7_140 Depth=1
	v_mov_b32_e32 v16, 0
	v_mov_b32_e32 v17, 0
	s_cmp_eq_u32 s21, 0
	s_cbranch_scc1 .LBB7_172
; %bb.170:                              ;   in Loop: Header=BB7_140 Depth=1
	s_mov_b64 s[4:5], 0
	s_mov_b64 s[18:19], 0
.LBB7_171:                              ;   Parent Loop BB7_140 Depth=1
                                        ; =>  This Inner Loop Header: Depth=2
	s_add_u32 s22, s16, s18
	s_addc_u32 s23, s17, s19
	s_add_u32 s18, s18, 1
	global_load_ubyte v6, v7, s[22:23]
	s_addc_u32 s19, s19, 0
	s_waitcnt vmcnt(0)
	v_and_b32_e32 v6, 0xffff, v6
	v_lshlrev_b64 v[18:19], s4, v[6:7]
	s_add_u32 s4, s4, 8
	s_addc_u32 s5, s5, 0
	s_cmp_lg_u32 s21, s18
	v_or_b32_e32 v16, v18, v16
	v_or_b32_e32 v17, v19, v17
	s_cbranch_scc1 .LBB7_171
.LBB7_172:                              ;   in Loop: Header=BB7_140 Depth=1
	s_mov_b64 s[4:5], s[16:17]
	s_mov_b32 s20, 0
	s_cbranch_execz .LBB7_174
	s_branch .LBB7_175
.LBB7_173:                              ;   in Loop: Header=BB7_140 Depth=1
	s_mov_b32 s20, 0
.LBB7_174:                              ;   in Loop: Header=BB7_140 Depth=1
	global_load_dwordx2 v[16:17], v7, s[16:17]
	s_add_i32 s20, s21, -8
.LBB7_175:                              ;   in Loop: Header=BB7_140 Depth=1
	s_add_u32 s16, s4, 8
	s_addc_u32 s17, s5, 0
	s_cmp_gt_u32 s20, 7
	s_cbranch_scc1 .LBB7_180
; %bb.176:                              ;   in Loop: Header=BB7_140 Depth=1
	v_mov_b32_e32 v18, 0
	v_mov_b32_e32 v19, 0
	s_cmp_eq_u32 s20, 0
	s_cbranch_scc1 .LBB7_179
; %bb.177:                              ;   in Loop: Header=BB7_140 Depth=1
	s_mov_b64 s[16:17], 0
	s_mov_b64 s[18:19], 0
.LBB7_178:                              ;   Parent Loop BB7_140 Depth=1
                                        ; =>  This Inner Loop Header: Depth=2
	s_add_u32 s22, s4, s18
	s_addc_u32 s23, s5, s19
	s_add_u32 s18, s18, 1
	global_load_ubyte v6, v7, s[22:23]
	s_addc_u32 s19, s19, 0
	s_waitcnt vmcnt(0)
	v_and_b32_e32 v6, 0xffff, v6
	v_lshlrev_b64 v[20:21], s16, v[6:7]
	s_add_u32 s16, s16, 8
	s_addc_u32 s17, s17, 0
	s_cmp_lg_u32 s20, s18
	v_or_b32_e32 v18, v20, v18
	v_or_b32_e32 v19, v21, v19
	s_cbranch_scc1 .LBB7_178
.LBB7_179:                              ;   in Loop: Header=BB7_140 Depth=1
	s_mov_b64 s[16:17], s[4:5]
	s_mov_b32 s21, 0
	s_cbranch_execz .LBB7_181
	s_branch .LBB7_182
.LBB7_180:                              ;   in Loop: Header=BB7_140 Depth=1
                                        ; implicit-def: $vgpr18_vgpr19
	s_mov_b32 s21, 0
.LBB7_181:                              ;   in Loop: Header=BB7_140 Depth=1
	global_load_dwordx2 v[18:19], v7, s[4:5]
	s_add_i32 s21, s20, -8
.LBB7_182:                              ;   in Loop: Header=BB7_140 Depth=1
	s_cmp_gt_u32 s21, 7
	s_cbranch_scc1 .LBB7_187
; %bb.183:                              ;   in Loop: Header=BB7_140 Depth=1
	v_mov_b32_e32 v20, 0
	v_mov_b32_e32 v21, 0
	s_cmp_eq_u32 s21, 0
	s_cbranch_scc1 .LBB7_186
; %bb.184:                              ;   in Loop: Header=BB7_140 Depth=1
	s_mov_b64 s[4:5], 0
	s_mov_b64 s[18:19], s[16:17]
.LBB7_185:                              ;   Parent Loop BB7_140 Depth=1
                                        ; =>  This Inner Loop Header: Depth=2
	global_load_ubyte v6, v7, s[18:19]
	s_add_i32 s21, s21, -1
	s_waitcnt vmcnt(0)
	v_and_b32_e32 v6, 0xffff, v6
	v_lshlrev_b64 v[22:23], s4, v[6:7]
	s_add_u32 s4, s4, 8
	s_addc_u32 s5, s5, 0
	s_add_u32 s18, s18, 1
	s_addc_u32 s19, s19, 0
	s_cmp_lg_u32 s21, 0
	v_or_b32_e32 v20, v22, v20
	v_or_b32_e32 v21, v23, v21
	s_cbranch_scc1 .LBB7_185
.LBB7_186:                              ;   in Loop: Header=BB7_140 Depth=1
	s_cbranch_execz .LBB7_188
	s_branch .LBB7_189
.LBB7_187:                              ;   in Loop: Header=BB7_140 Depth=1
.LBB7_188:                              ;   in Loop: Header=BB7_140 Depth=1
	global_load_dwordx2 v[20:21], v7, s[16:17]
.LBB7_189:                              ;   in Loop: Header=BB7_140 Depth=1
	v_readfirstlane_b32 s4, v29
	v_mov_b32_e32 v26, 0
	v_mov_b32_e32 v27, 0
	v_cmp_eq_u32_e64 s4, s4, v29
	s_and_saveexec_b32 s5, s4
	s_cbranch_execz .LBB7_195
; %bb.190:                              ;   in Loop: Header=BB7_140 Depth=1
	global_load_dwordx2 v[24:25], v7, s[6:7] offset:24 glc dlc
	s_waitcnt vmcnt(0)
	buffer_gl1_inv
	buffer_gl0_inv
	s_clause 0x1
	global_load_dwordx2 v[22:23], v7, s[6:7] offset:40
	global_load_dwordx2 v[26:27], v7, s[6:7]
	s_mov_b32 s16, exec_lo
	s_waitcnt vmcnt(1)
	v_and_b32_e32 v6, v23, v25
	v_and_b32_e32 v22, v22, v24
	v_mul_lo_u32 v6, v6, 24
	v_mul_hi_u32 v23, v22, 24
	v_mul_lo_u32 v22, v22, 24
	v_add_nc_u32_e32 v6, v23, v6
	s_waitcnt vmcnt(0)
	v_add_co_u32 v22, vcc_lo, v26, v22
	v_add_co_ci_u32_e64 v23, null, v27, v6, vcc_lo
	global_load_dwordx2 v[22:23], v[22:23], off glc dlc
	s_waitcnt vmcnt(0)
	global_atomic_cmpswap_x2 v[26:27], v7, v[22:25], s[6:7] offset:24 glc
	s_waitcnt vmcnt(0)
	buffer_gl1_inv
	buffer_gl0_inv
	v_cmpx_ne_u64_e64 v[26:27], v[24:25]
	s_cbranch_execz .LBB7_194
; %bb.191:                              ;   in Loop: Header=BB7_140 Depth=1
	s_mov_b32 s17, 0
	.p2align	6
.LBB7_192:                              ;   Parent Loop BB7_140 Depth=1
                                        ; =>  This Inner Loop Header: Depth=2
	s_sleep 1
	s_clause 0x1
	global_load_dwordx2 v[22:23], v7, s[6:7] offset:40
	global_load_dwordx2 v[31:32], v7, s[6:7]
	v_mov_b32_e32 v24, v26
	v_mov_b32_e32 v25, v27
	s_waitcnt vmcnt(1)
	v_and_b32_e32 v6, v22, v24
	v_and_b32_e32 v22, v23, v25
	s_waitcnt vmcnt(0)
	v_mad_u64_u32 v[26:27], null, v6, 24, v[31:32]
	v_mov_b32_e32 v6, v27
	v_mad_u64_u32 v[22:23], null, v22, 24, v[6:7]
	v_mov_b32_e32 v27, v22
	global_load_dwordx2 v[22:23], v[26:27], off glc dlc
	s_waitcnt vmcnt(0)
	global_atomic_cmpswap_x2 v[26:27], v7, v[22:25], s[6:7] offset:24 glc
	s_waitcnt vmcnt(0)
	buffer_gl1_inv
	buffer_gl0_inv
	v_cmp_eq_u64_e32 vcc_lo, v[26:27], v[24:25]
	s_or_b32 s17, vcc_lo, s17
	s_andn2_b32 exec_lo, exec_lo, s17
	s_cbranch_execnz .LBB7_192
; %bb.193:                              ;   in Loop: Header=BB7_140 Depth=1
	s_or_b32 exec_lo, exec_lo, s17
.LBB7_194:                              ;   in Loop: Header=BB7_140 Depth=1
	s_or_b32 exec_lo, exec_lo, s16
.LBB7_195:                              ;   in Loop: Header=BB7_140 Depth=1
	s_or_b32 exec_lo, exec_lo, s5
	s_clause 0x1
	global_load_dwordx2 v[31:32], v7, s[6:7] offset:40
	global_load_dwordx4 v[22:25], v7, s[6:7]
	v_readfirstlane_b32 s17, v27
	v_readfirstlane_b32 s16, v26
	s_mov_b32 s5, exec_lo
	s_waitcnt vmcnt(1)
	v_readfirstlane_b32 s18, v31
	v_readfirstlane_b32 s19, v32
	s_and_b64 s[18:19], s[18:19], s[16:17]
	s_mul_i32 s20, s19, 24
	s_mul_hi_u32 s21, s18, 24
	s_mul_i32 s22, s18, 24
	s_add_i32 s21, s21, s20
	s_waitcnt vmcnt(0)
	v_add_co_u32 v26, vcc_lo, v22, s22
	v_add_co_ci_u32_e64 v27, null, s21, v23, vcc_lo
	s_and_saveexec_b32 s20, s4
	s_cbranch_execz .LBB7_197
; %bb.196:                              ;   in Loop: Header=BB7_140 Depth=1
	v_mov_b32_e32 v6, s5
	global_store_dwordx4 v[26:27], v[6:9], off offset:8
.LBB7_197:                              ;   in Loop: Header=BB7_140 Depth=1
	s_or_b32 exec_lo, exec_lo, s20
	v_cmp_lt_u64_e64 vcc_lo, s[10:11], 57
	s_lshl_b64 s[18:19], s[18:19], 12
	v_and_b32_e32 v2, 0xffffff1f, v2
	s_lshl_b32 s5, s14, 2
	s_add_i32 s5, s5, 28
	v_cndmask_b32_e32 v6, 0, v30, vcc_lo
	v_add_co_u32 v24, vcc_lo, v24, s18
	v_add_co_ci_u32_e64 v25, null, s19, v25, vcc_lo
	v_or_b32_e32 v2, v2, v6
	v_readfirstlane_b32 s18, v24
	v_readfirstlane_b32 s19, v25
	v_and_or_b32 v2, 0x1e0, s5, v2
	global_store_dwordx4 v28, v[10:13], s[18:19] offset:16
	global_store_dwordx4 v28, v[2:5], s[18:19]
	global_store_dwordx4 v28, v[14:17], s[18:19] offset:32
	global_store_dwordx4 v28, v[18:21], s[18:19] offset:48
	s_and_saveexec_b32 s5, s4
	s_cbranch_execz .LBB7_205
; %bb.198:                              ;   in Loop: Header=BB7_140 Depth=1
	s_clause 0x1
	global_load_dwordx2 v[14:15], v7, s[6:7] offset:32 glc dlc
	global_load_dwordx2 v[2:3], v7, s[6:7] offset:40
	v_mov_b32_e32 v12, s16
	v_mov_b32_e32 v13, s17
	s_waitcnt vmcnt(0)
	v_readfirstlane_b32 s18, v2
	v_readfirstlane_b32 s19, v3
	s_and_b64 s[18:19], s[18:19], s[16:17]
	s_mul_i32 s19, s19, 24
	s_mul_hi_u32 s20, s18, 24
	s_mul_i32 s18, s18, 24
	s_add_i32 s20, s20, s19
	v_add_co_u32 v10, vcc_lo, v22, s18
	v_add_co_ci_u32_e64 v11, null, s20, v23, vcc_lo
	s_mov_b32 s18, exec_lo
	global_store_dwordx2 v[10:11], v[14:15], off
	s_waitcnt_vscnt null, 0x0
	global_atomic_cmpswap_x2 v[4:5], v7, v[12:15], s[6:7] offset:32 glc
	s_waitcnt vmcnt(0)
	v_cmpx_ne_u64_e64 v[4:5], v[14:15]
	s_cbranch_execz .LBB7_201
; %bb.199:                              ;   in Loop: Header=BB7_140 Depth=1
	s_mov_b32 s19, 0
.LBB7_200:                              ;   Parent Loop BB7_140 Depth=1
                                        ; =>  This Inner Loop Header: Depth=2
	v_mov_b32_e32 v2, s16
	v_mov_b32_e32 v3, s17
	s_sleep 1
	global_store_dwordx2 v[10:11], v[4:5], off
	s_waitcnt_vscnt null, 0x0
	global_atomic_cmpswap_x2 v[2:3], v7, v[2:5], s[6:7] offset:32 glc
	s_waitcnt vmcnt(0)
	v_cmp_eq_u64_e32 vcc_lo, v[2:3], v[4:5]
	v_mov_b32_e32 v5, v3
	v_mov_b32_e32 v4, v2
	s_or_b32 s19, vcc_lo, s19
	s_andn2_b32 exec_lo, exec_lo, s19
	s_cbranch_execnz .LBB7_200
.LBB7_201:                              ;   in Loop: Header=BB7_140 Depth=1
	s_or_b32 exec_lo, exec_lo, s18
	global_load_dwordx2 v[2:3], v7, s[6:7] offset:16
	s_mov_b32 s19, exec_lo
	s_mov_b32 s18, exec_lo
	v_mbcnt_lo_u32_b32 v4, s19, 0
	v_cmpx_eq_u32_e32 0, v4
	s_cbranch_execz .LBB7_203
; %bb.202:                              ;   in Loop: Header=BB7_140 Depth=1
	s_bcnt1_i32_b32 s19, s19
	v_mov_b32_e32 v6, s19
	s_waitcnt vmcnt(0)
	global_atomic_add_x2 v[2:3], v[6:7], off offset:8
.LBB7_203:                              ;   in Loop: Header=BB7_140 Depth=1
	s_or_b32 exec_lo, exec_lo, s18
	s_waitcnt vmcnt(0)
	global_load_dwordx2 v[4:5], v[2:3], off offset:16
	s_waitcnt vmcnt(0)
	v_cmp_eq_u64_e32 vcc_lo, 0, v[4:5]
	s_cbranch_vccnz .LBB7_205
; %bb.204:                              ;   in Loop: Header=BB7_140 Depth=1
	global_load_dword v6, v[2:3], off offset:24
	s_waitcnt vmcnt(0)
	v_readfirstlane_b32 s18, v6
	s_waitcnt_vscnt null, 0x0
	global_store_dwordx2 v[4:5], v[6:7], off
	s_and_b32 m0, s18, 0x7fffff
	s_sendmsg sendmsg(MSG_INTERRUPT)
.LBB7_205:                              ;   in Loop: Header=BB7_140 Depth=1
	s_or_b32 exec_lo, exec_lo, s5
	v_add_co_u32 v2, vcc_lo, v24, v28
	v_add_co_ci_u32_e64 v3, null, 0, v25, vcc_lo
	s_branch .LBB7_209
	.p2align	6
.LBB7_206:                              ;   in Loop: Header=BB7_209 Depth=2
	s_or_b32 exec_lo, exec_lo, s5
	v_readfirstlane_b32 s5, v4
	s_cmp_eq_u32 s5, 0
	s_cbranch_scc1 .LBB7_208
; %bb.207:                              ;   in Loop: Header=BB7_209 Depth=2
	s_sleep 1
	s_cbranch_execnz .LBB7_209
	s_branch .LBB7_211
	.p2align	6
.LBB7_208:                              ;   in Loop: Header=BB7_140 Depth=1
	s_branch .LBB7_211
.LBB7_209:                              ;   Parent Loop BB7_140 Depth=1
                                        ; =>  This Inner Loop Header: Depth=2
	v_mov_b32_e32 v4, 1
	s_and_saveexec_b32 s5, s4
	s_cbranch_execz .LBB7_206
; %bb.210:                              ;   in Loop: Header=BB7_209 Depth=2
	global_load_dword v4, v[26:27], off offset:20 glc dlc
	s_waitcnt vmcnt(0)
	buffer_gl1_inv
	buffer_gl0_inv
	v_and_b32_e32 v4, 1, v4
	s_branch .LBB7_206
.LBB7_211:                              ;   in Loop: Header=BB7_140 Depth=1
	global_load_dwordx2 v[2:3], v[2:3], off
	s_and_saveexec_b32 s18, s4
	s_cbranch_execz .LBB7_139
; %bb.212:                              ;   in Loop: Header=BB7_140 Depth=1
	s_clause 0x2
	global_load_dwordx2 v[4:5], v7, s[6:7] offset:40
	global_load_dwordx2 v[14:15], v7, s[6:7] offset:24 glc dlc
	global_load_dwordx2 v[10:11], v7, s[6:7]
	s_waitcnt vmcnt(2)
	v_readfirstlane_b32 s20, v4
	v_readfirstlane_b32 s21, v5
	s_add_u32 s19, s20, 1
	s_addc_u32 s22, s21, 0
	s_add_u32 s4, s19, s16
	s_addc_u32 s5, s22, s17
	s_cmp_eq_u64 s[4:5], 0
	s_cselect_b32 s5, s22, s5
	s_cselect_b32 s4, s19, s4
	v_mov_b32_e32 v13, s5
	s_and_b64 s[16:17], s[4:5], s[20:21]
	v_mov_b32_e32 v12, s4
	s_mul_i32 s17, s17, 24
	s_mul_hi_u32 s19, s16, 24
	s_mul_i32 s16, s16, 24
	s_add_i32 s19, s19, s17
	s_waitcnt vmcnt(0)
	v_add_co_u32 v4, vcc_lo, v10, s16
	v_add_co_ci_u32_e64 v5, null, s19, v11, vcc_lo
	global_store_dwordx2 v[4:5], v[14:15], off
	s_waitcnt_vscnt null, 0x0
	global_atomic_cmpswap_x2 v[12:13], v7, v[12:15], s[6:7] offset:24 glc
	s_waitcnt vmcnt(0)
	v_cmp_ne_u64_e32 vcc_lo, v[12:13], v[14:15]
	s_and_b32 exec_lo, exec_lo, vcc_lo
	s_cbranch_execz .LBB7_139
; %bb.213:                              ;   in Loop: Header=BB7_140 Depth=1
	s_mov_b32 s16, 0
.LBB7_214:                              ;   Parent Loop BB7_140 Depth=1
                                        ; =>  This Inner Loop Header: Depth=2
	v_mov_b32_e32 v10, s4
	v_mov_b32_e32 v11, s5
	s_sleep 1
	global_store_dwordx2 v[4:5], v[12:13], off
	s_waitcnt_vscnt null, 0x0
	global_atomic_cmpswap_x2 v[10:11], v7, v[10:13], s[6:7] offset:24 glc
	s_waitcnt vmcnt(0)
	v_cmp_eq_u64_e32 vcc_lo, v[10:11], v[12:13]
	v_mov_b32_e32 v13, v11
	v_mov_b32_e32 v12, v10
	s_or_b32 s16, vcc_lo, s16
	s_andn2_b32 exec_lo, exec_lo, s16
	s_cbranch_execnz .LBB7_214
	s_branch .LBB7_139
.LBB7_215:
                                        ; implicit-def: $vgpr2_vgpr3
	s_cbranch_execnz .LBB7_217
	s_branch .LBB7_244
.LBB7_216:
	s_branch .LBB7_244
.LBB7_217:
	v_readfirstlane_b32 s4, v29
	v_mov_b32_e32 v8, 0
	v_mov_b32_e32 v9, 0
	v_cmp_eq_u32_e64 s4, s4, v29
	s_and_saveexec_b32 s5, s4
	s_cbranch_execz .LBB7_223
; %bb.218:
	s_waitcnt vmcnt(0)
	v_mov_b32_e32 v2, 0
	s_mov_b32 s10, exec_lo
	global_load_dwordx2 v[5:6], v2, s[6:7] offset:24 glc dlc
	s_waitcnt vmcnt(0)
	buffer_gl1_inv
	buffer_gl0_inv
	s_clause 0x1
	global_load_dwordx2 v[3:4], v2, s[6:7] offset:40
	global_load_dwordx2 v[7:8], v2, s[6:7]
	s_waitcnt vmcnt(1)
	v_and_b32_e32 v4, v4, v6
	v_and_b32_e32 v3, v3, v5
	v_mul_lo_u32 v4, v4, 24
	v_mul_hi_u32 v9, v3, 24
	v_mul_lo_u32 v3, v3, 24
	v_add_nc_u32_e32 v4, v9, v4
	s_waitcnt vmcnt(0)
	v_add_co_u32 v3, vcc_lo, v7, v3
	v_add_co_ci_u32_e64 v4, null, v8, v4, vcc_lo
	global_load_dwordx2 v[3:4], v[3:4], off glc dlc
	s_waitcnt vmcnt(0)
	global_atomic_cmpswap_x2 v[8:9], v2, v[3:6], s[6:7] offset:24 glc
	s_waitcnt vmcnt(0)
	buffer_gl1_inv
	buffer_gl0_inv
	v_cmpx_ne_u64_e64 v[8:9], v[5:6]
	s_cbranch_execz .LBB7_222
; %bb.219:
	s_mov_b32 s11, 0
	.p2align	6
.LBB7_220:                              ; =>This Inner Loop Header: Depth=1
	s_sleep 1
	s_clause 0x1
	global_load_dwordx2 v[3:4], v2, s[6:7] offset:40
	global_load_dwordx2 v[10:11], v2, s[6:7]
	v_mov_b32_e32 v5, v8
	v_mov_b32_e32 v6, v9
	s_waitcnt vmcnt(1)
	v_and_b32_e32 v3, v3, v5
	v_and_b32_e32 v4, v4, v6
	s_waitcnt vmcnt(0)
	v_mad_u64_u32 v[7:8], null, v3, 24, v[10:11]
	v_mov_b32_e32 v3, v8
	v_mad_u64_u32 v[3:4], null, v4, 24, v[3:4]
	v_mov_b32_e32 v8, v3
	global_load_dwordx2 v[3:4], v[7:8], off glc dlc
	s_waitcnt vmcnt(0)
	global_atomic_cmpswap_x2 v[8:9], v2, v[3:6], s[6:7] offset:24 glc
	s_waitcnt vmcnt(0)
	buffer_gl1_inv
	buffer_gl0_inv
	v_cmp_eq_u64_e32 vcc_lo, v[8:9], v[5:6]
	s_or_b32 s11, vcc_lo, s11
	s_andn2_b32 exec_lo, exec_lo, s11
	s_cbranch_execnz .LBB7_220
; %bb.221:
	s_or_b32 exec_lo, exec_lo, s11
.LBB7_222:
	s_or_b32 exec_lo, exec_lo, s10
.LBB7_223:
	s_or_b32 exec_lo, exec_lo, s5
	s_waitcnt vmcnt(0)
	v_mov_b32_e32 v2, 0
	v_readfirstlane_b32 s11, v9
	v_readfirstlane_b32 s10, v8
	s_mov_b32 s5, exec_lo
	s_clause 0x1
	global_load_dwordx2 v[10:11], v2, s[6:7] offset:40
	global_load_dwordx4 v[4:7], v2, s[6:7]
	s_waitcnt vmcnt(1)
	v_readfirstlane_b32 s12, v10
	v_readfirstlane_b32 s13, v11
	s_and_b64 s[12:13], s[12:13], s[10:11]
	s_mul_i32 s14, s13, 24
	s_mul_hi_u32 s15, s12, 24
	s_mul_i32 s16, s12, 24
	s_add_i32 s15, s15, s14
	s_waitcnt vmcnt(0)
	v_add_co_u32 v8, vcc_lo, v4, s16
	v_add_co_ci_u32_e64 v9, null, s15, v5, vcc_lo
	s_and_saveexec_b32 s14, s4
	s_cbranch_execz .LBB7_225
; %bb.224:
	v_mov_b32_e32 v10, s5
	v_mov_b32_e32 v11, v2
	;; [unrolled: 1-line block ×4, first 2 shown]
	global_store_dwordx4 v[8:9], v[10:13], off offset:8
.LBB7_225:
	s_or_b32 exec_lo, exec_lo, s14
	s_lshl_b64 s[12:13], s[12:13], 12
	v_and_or_b32 v0, 0xffffff1f, v0, 32
	v_add_co_u32 v6, vcc_lo, v6, s12
	v_add_co_ci_u32_e64 v7, null, s13, v7, vcc_lo
	s_mov_b32 s12, 0
	v_readfirstlane_b32 s16, v6
	v_add_co_u32 v6, vcc_lo, v6, v28
	s_mov_b32 s13, s12
	s_mov_b32 s14, s12
	;; [unrolled: 1-line block ×3, first 2 shown]
	v_mov_b32_e32 v3, v2
	v_readfirstlane_b32 s17, v7
	v_mov_b32_e32 v10, s12
	v_add_co_ci_u32_e64 v7, null, 0, v7, vcc_lo
	v_mov_b32_e32 v11, s13
	v_mov_b32_e32 v12, s14
	;; [unrolled: 1-line block ×3, first 2 shown]
	global_store_dwordx4 v28, v[0:3], s[16:17]
	global_store_dwordx4 v28, v[10:13], s[16:17] offset:16
	global_store_dwordx4 v28, v[10:13], s[16:17] offset:32
	;; [unrolled: 1-line block ×3, first 2 shown]
	s_and_saveexec_b32 s5, s4
	s_cbranch_execz .LBB7_233
; %bb.226:
	v_mov_b32_e32 v10, 0
	v_mov_b32_e32 v11, s10
	v_mov_b32_e32 v12, s11
	s_clause 0x1
	global_load_dwordx2 v[13:14], v10, s[6:7] offset:32 glc dlc
	global_load_dwordx2 v[0:1], v10, s[6:7] offset:40
	s_waitcnt vmcnt(0)
	v_readfirstlane_b32 s12, v0
	v_readfirstlane_b32 s13, v1
	s_and_b64 s[12:13], s[12:13], s[10:11]
	s_mul_i32 s13, s13, 24
	s_mul_hi_u32 s14, s12, 24
	s_mul_i32 s12, s12, 24
	s_add_i32 s14, s14, s13
	v_add_co_u32 v4, vcc_lo, v4, s12
	v_add_co_ci_u32_e64 v5, null, s14, v5, vcc_lo
	s_mov_b32 s12, exec_lo
	global_store_dwordx2 v[4:5], v[13:14], off
	s_waitcnt_vscnt null, 0x0
	global_atomic_cmpswap_x2 v[2:3], v10, v[11:14], s[6:7] offset:32 glc
	s_waitcnt vmcnt(0)
	v_cmpx_ne_u64_e64 v[2:3], v[13:14]
	s_cbranch_execz .LBB7_229
; %bb.227:
	s_mov_b32 s13, 0
.LBB7_228:                              ; =>This Inner Loop Header: Depth=1
	v_mov_b32_e32 v0, s10
	v_mov_b32_e32 v1, s11
	s_sleep 1
	global_store_dwordx2 v[4:5], v[2:3], off
	s_waitcnt_vscnt null, 0x0
	global_atomic_cmpswap_x2 v[0:1], v10, v[0:3], s[6:7] offset:32 glc
	s_waitcnt vmcnt(0)
	v_cmp_eq_u64_e32 vcc_lo, v[0:1], v[2:3]
	v_mov_b32_e32 v3, v1
	v_mov_b32_e32 v2, v0
	s_or_b32 s13, vcc_lo, s13
	s_andn2_b32 exec_lo, exec_lo, s13
	s_cbranch_execnz .LBB7_228
.LBB7_229:
	s_or_b32 exec_lo, exec_lo, s12
	v_mov_b32_e32 v3, 0
	s_mov_b32 s13, exec_lo
	s_mov_b32 s12, exec_lo
	v_mbcnt_lo_u32_b32 v2, s13, 0
	global_load_dwordx2 v[0:1], v3, s[6:7] offset:16
	v_cmpx_eq_u32_e32 0, v2
	s_cbranch_execz .LBB7_231
; %bb.230:
	s_bcnt1_i32_b32 s13, s13
	v_mov_b32_e32 v2, s13
	s_waitcnt vmcnt(0)
	global_atomic_add_x2 v[0:1], v[2:3], off offset:8
.LBB7_231:
	s_or_b32 exec_lo, exec_lo, s12
	s_waitcnt vmcnt(0)
	global_load_dwordx2 v[2:3], v[0:1], off offset:16
	s_waitcnt vmcnt(0)
	v_cmp_eq_u64_e32 vcc_lo, 0, v[2:3]
	s_cbranch_vccnz .LBB7_233
; %bb.232:
	global_load_dword v0, v[0:1], off offset:24
	v_mov_b32_e32 v1, 0
	s_waitcnt vmcnt(0)
	v_readfirstlane_b32 s12, v0
	s_waitcnt_vscnt null, 0x0
	global_store_dwordx2 v[2:3], v[0:1], off
	s_and_b32 m0, s12, 0x7fffff
	s_sendmsg sendmsg(MSG_INTERRUPT)
.LBB7_233:
	s_or_b32 exec_lo, exec_lo, s5
	s_branch .LBB7_237
	.p2align	6
.LBB7_234:                              ;   in Loop: Header=BB7_237 Depth=1
	s_or_b32 exec_lo, exec_lo, s5
	v_readfirstlane_b32 s5, v0
	s_cmp_eq_u32 s5, 0
	s_cbranch_scc1 .LBB7_236
; %bb.235:                              ;   in Loop: Header=BB7_237 Depth=1
	s_sleep 1
	s_cbranch_execnz .LBB7_237
	s_branch .LBB7_239
	.p2align	6
.LBB7_236:
	s_branch .LBB7_239
.LBB7_237:                              ; =>This Inner Loop Header: Depth=1
	v_mov_b32_e32 v0, 1
	s_and_saveexec_b32 s5, s4
	s_cbranch_execz .LBB7_234
; %bb.238:                              ;   in Loop: Header=BB7_237 Depth=1
	global_load_dword v0, v[8:9], off offset:20 glc dlc
	s_waitcnt vmcnt(0)
	buffer_gl1_inv
	buffer_gl0_inv
	v_and_b32_e32 v0, 1, v0
	s_branch .LBB7_234
.LBB7_239:
	global_load_dwordx2 v[2:3], v[6:7], off
	s_and_saveexec_b32 s12, s4
	s_cbranch_execz .LBB7_243
; %bb.240:
	v_mov_b32_e32 v8, 0
	s_clause 0x2
	global_load_dwordx2 v[0:1], v8, s[6:7] offset:40
	global_load_dwordx2 v[11:12], v8, s[6:7] offset:24 glc dlc
	global_load_dwordx2 v[4:5], v8, s[6:7]
	s_waitcnt vmcnt(2)
	v_readfirstlane_b32 s14, v0
	v_readfirstlane_b32 s15, v1
	s_add_u32 s13, s14, 1
	s_addc_u32 s16, s15, 0
	s_add_u32 s4, s13, s10
	s_addc_u32 s5, s16, s11
	s_cmp_eq_u64 s[4:5], 0
	s_cselect_b32 s5, s16, s5
	s_cselect_b32 s4, s13, s4
	v_mov_b32_e32 v10, s5
	s_and_b64 s[10:11], s[4:5], s[14:15]
	v_mov_b32_e32 v9, s4
	s_mul_i32 s11, s11, 24
	s_mul_hi_u32 s13, s10, 24
	s_mul_i32 s10, s10, 24
	s_add_i32 s13, s13, s11
	s_waitcnt vmcnt(0)
	v_add_co_u32 v0, vcc_lo, v4, s10
	v_add_co_ci_u32_e64 v1, null, s13, v5, vcc_lo
	global_store_dwordx2 v[0:1], v[11:12], off
	s_waitcnt_vscnt null, 0x0
	global_atomic_cmpswap_x2 v[6:7], v8, v[9:12], s[6:7] offset:24 glc
	s_waitcnt vmcnt(0)
	v_cmp_ne_u64_e32 vcc_lo, v[6:7], v[11:12]
	s_and_b32 exec_lo, exec_lo, vcc_lo
	s_cbranch_execz .LBB7_243
; %bb.241:
	s_mov_b32 s10, 0
.LBB7_242:                              ; =>This Inner Loop Header: Depth=1
	v_mov_b32_e32 v4, s4
	v_mov_b32_e32 v5, s5
	s_sleep 1
	global_store_dwordx2 v[0:1], v[6:7], off
	s_waitcnt_vscnt null, 0x0
	global_atomic_cmpswap_x2 v[4:5], v8, v[4:7], s[6:7] offset:24 glc
	s_waitcnt vmcnt(0)
	v_cmp_eq_u64_e32 vcc_lo, v[4:5], v[6:7]
	v_mov_b32_e32 v7, v5
	v_mov_b32_e32 v6, v4
	s_or_b32 s10, vcc_lo, s10
	s_andn2_b32 exec_lo, exec_lo, s10
	s_cbranch_execnz .LBB7_242
.LBB7_243:
	s_or_b32 exec_lo, exec_lo, s12
.LBB7_244:
	v_readfirstlane_b32 s4, v29
	s_waitcnt vmcnt(0)
	v_mov_b32_e32 v0, 0
	v_mov_b32_e32 v1, 0
	v_cmp_eq_u32_e64 s4, s4, v29
	s_and_saveexec_b32 s5, s4
	s_cbranch_execz .LBB7_250
; %bb.245:
	v_mov_b32_e32 v4, 0
	s_mov_b32 s10, exec_lo
	global_load_dwordx2 v[7:8], v4, s[6:7] offset:24 glc dlc
	s_waitcnt vmcnt(0)
	buffer_gl1_inv
	buffer_gl0_inv
	s_clause 0x1
	global_load_dwordx2 v[0:1], v4, s[6:7] offset:40
	global_load_dwordx2 v[5:6], v4, s[6:7]
	s_waitcnt vmcnt(1)
	v_and_b32_e32 v1, v1, v8
	v_and_b32_e32 v0, v0, v7
	v_mul_lo_u32 v1, v1, 24
	v_mul_hi_u32 v9, v0, 24
	v_mul_lo_u32 v0, v0, 24
	v_add_nc_u32_e32 v1, v9, v1
	s_waitcnt vmcnt(0)
	v_add_co_u32 v0, vcc_lo, v5, v0
	v_add_co_ci_u32_e64 v1, null, v6, v1, vcc_lo
	global_load_dwordx2 v[5:6], v[0:1], off glc dlc
	s_waitcnt vmcnt(0)
	global_atomic_cmpswap_x2 v[0:1], v4, v[5:8], s[6:7] offset:24 glc
	s_waitcnt vmcnt(0)
	buffer_gl1_inv
	buffer_gl0_inv
	v_cmpx_ne_u64_e64 v[0:1], v[7:8]
	s_cbranch_execz .LBB7_249
; %bb.246:
	s_mov_b32 s11, 0
	.p2align	6
.LBB7_247:                              ; =>This Inner Loop Header: Depth=1
	s_sleep 1
	s_clause 0x1
	global_load_dwordx2 v[5:6], v4, s[6:7] offset:40
	global_load_dwordx2 v[9:10], v4, s[6:7]
	v_mov_b32_e32 v8, v1
	v_mov_b32_e32 v7, v0
	s_waitcnt vmcnt(1)
	v_and_b32_e32 v0, v5, v7
	v_and_b32_e32 v5, v6, v8
	s_waitcnt vmcnt(0)
	v_mad_u64_u32 v[0:1], null, v0, 24, v[9:10]
	v_mad_u64_u32 v[5:6], null, v5, 24, v[1:2]
	v_mov_b32_e32 v1, v5
	global_load_dwordx2 v[5:6], v[0:1], off glc dlc
	s_waitcnt vmcnt(0)
	global_atomic_cmpswap_x2 v[0:1], v4, v[5:8], s[6:7] offset:24 glc
	s_waitcnt vmcnt(0)
	buffer_gl1_inv
	buffer_gl0_inv
	v_cmp_eq_u64_e32 vcc_lo, v[0:1], v[7:8]
	s_or_b32 s11, vcc_lo, s11
	s_andn2_b32 exec_lo, exec_lo, s11
	s_cbranch_execnz .LBB7_247
; %bb.248:
	s_or_b32 exec_lo, exec_lo, s11
.LBB7_249:
	s_or_b32 exec_lo, exec_lo, s10
.LBB7_250:
	s_or_b32 exec_lo, exec_lo, s5
	v_mov_b32_e32 v5, 0
	v_readfirstlane_b32 s11, v1
	v_readfirstlane_b32 s10, v0
	s_mov_b32 s5, exec_lo
	s_clause 0x1
	global_load_dwordx2 v[10:11], v5, s[6:7] offset:40
	global_load_dwordx4 v[6:9], v5, s[6:7]
	s_waitcnt vmcnt(1)
	v_readfirstlane_b32 s12, v10
	v_readfirstlane_b32 s13, v11
	s_and_b64 s[12:13], s[12:13], s[10:11]
	s_mul_i32 s14, s13, 24
	s_mul_hi_u32 s15, s12, 24
	s_mul_i32 s16, s12, 24
	s_add_i32 s15, s15, s14
	s_waitcnt vmcnt(0)
	v_add_co_u32 v10, vcc_lo, v6, s16
	v_add_co_ci_u32_e64 v11, null, s15, v7, vcc_lo
	s_and_saveexec_b32 s14, s4
	s_cbranch_execz .LBB7_252
; %bb.251:
	v_mov_b32_e32 v4, s5
	v_mov_b32_e32 v13, v5
	;; [unrolled: 1-line block ×5, first 2 shown]
	global_store_dwordx4 v[10:11], v[12:15], off offset:8
.LBB7_252:
	s_or_b32 exec_lo, exec_lo, s14
	s_lshl_b64 s[12:13], s[12:13], 12
	v_and_or_b32 v2, 0xffffff1f, v2, 32
	v_add_co_u32 v0, vcc_lo, v8, s12
	v_add_co_ci_u32_e64 v1, null, s13, v9, vcc_lo
	s_mov_b32 s12, 0
	v_add_co_u32 v8, vcc_lo, v0, v28
	s_mov_b32 s13, s12
	s_mov_b32 s14, s12
	;; [unrolled: 1-line block ×3, first 2 shown]
	v_mov_b32_e32 v4, 0x41
	v_readfirstlane_b32 s16, v0
	v_readfirstlane_b32 s17, v1
	v_mov_b32_e32 v12, s12
	v_add_co_ci_u32_e64 v9, null, 0, v1, vcc_lo
	v_mov_b32_e32 v13, s13
	v_mov_b32_e32 v14, s14
	;; [unrolled: 1-line block ×3, first 2 shown]
	global_store_dwordx4 v28, v[2:5], s[16:17]
	global_store_dwordx4 v28, v[12:15], s[16:17] offset:16
	global_store_dwordx4 v28, v[12:15], s[16:17] offset:32
	;; [unrolled: 1-line block ×3, first 2 shown]
	s_and_saveexec_b32 s5, s4
	s_cbranch_execz .LBB7_260
; %bb.253:
	v_mov_b32_e32 v12, 0
	v_mov_b32_e32 v13, s10
	;; [unrolled: 1-line block ×3, first 2 shown]
	s_clause 0x1
	global_load_dwordx2 v[15:16], v12, s[6:7] offset:32 glc dlc
	global_load_dwordx2 v[0:1], v12, s[6:7] offset:40
	s_waitcnt vmcnt(0)
	v_readfirstlane_b32 s12, v0
	v_readfirstlane_b32 s13, v1
	s_and_b64 s[12:13], s[12:13], s[10:11]
	s_mul_i32 s13, s13, 24
	s_mul_hi_u32 s14, s12, 24
	s_mul_i32 s12, s12, 24
	s_add_i32 s14, s14, s13
	v_add_co_u32 v4, vcc_lo, v6, s12
	v_add_co_ci_u32_e64 v5, null, s14, v7, vcc_lo
	s_mov_b32 s12, exec_lo
	global_store_dwordx2 v[4:5], v[15:16], off
	s_waitcnt_vscnt null, 0x0
	global_atomic_cmpswap_x2 v[2:3], v12, v[13:16], s[6:7] offset:32 glc
	s_waitcnt vmcnt(0)
	v_cmpx_ne_u64_e64 v[2:3], v[15:16]
	s_cbranch_execz .LBB7_256
; %bb.254:
	s_mov_b32 s13, 0
.LBB7_255:                              ; =>This Inner Loop Header: Depth=1
	v_mov_b32_e32 v0, s10
	v_mov_b32_e32 v1, s11
	s_sleep 1
	global_store_dwordx2 v[4:5], v[2:3], off
	s_waitcnt_vscnt null, 0x0
	global_atomic_cmpswap_x2 v[0:1], v12, v[0:3], s[6:7] offset:32 glc
	s_waitcnt vmcnt(0)
	v_cmp_eq_u64_e32 vcc_lo, v[0:1], v[2:3]
	v_mov_b32_e32 v3, v1
	v_mov_b32_e32 v2, v0
	s_or_b32 s13, vcc_lo, s13
	s_andn2_b32 exec_lo, exec_lo, s13
	s_cbranch_execnz .LBB7_255
.LBB7_256:
	s_or_b32 exec_lo, exec_lo, s12
	v_mov_b32_e32 v3, 0
	s_mov_b32 s13, exec_lo
	s_mov_b32 s12, exec_lo
	v_mbcnt_lo_u32_b32 v2, s13, 0
	global_load_dwordx2 v[0:1], v3, s[6:7] offset:16
	v_cmpx_eq_u32_e32 0, v2
	s_cbranch_execz .LBB7_258
; %bb.257:
	s_bcnt1_i32_b32 s13, s13
	v_mov_b32_e32 v2, s13
	s_waitcnt vmcnt(0)
	global_atomic_add_x2 v[0:1], v[2:3], off offset:8
.LBB7_258:
	s_or_b32 exec_lo, exec_lo, s12
	s_waitcnt vmcnt(0)
	global_load_dwordx2 v[2:3], v[0:1], off offset:16
	s_waitcnt vmcnt(0)
	v_cmp_eq_u64_e32 vcc_lo, 0, v[2:3]
	s_cbranch_vccnz .LBB7_260
; %bb.259:
	global_load_dword v0, v[0:1], off offset:24
	v_mov_b32_e32 v1, 0
	s_waitcnt vmcnt(0)
	v_readfirstlane_b32 s12, v0
	s_waitcnt_vscnt null, 0x0
	global_store_dwordx2 v[2:3], v[0:1], off
	s_and_b32 m0, s12, 0x7fffff
	s_sendmsg sendmsg(MSG_INTERRUPT)
.LBB7_260:
	s_or_b32 exec_lo, exec_lo, s5
	s_branch .LBB7_264
	.p2align	6
.LBB7_261:                              ;   in Loop: Header=BB7_264 Depth=1
	s_or_b32 exec_lo, exec_lo, s5
	v_readfirstlane_b32 s5, v0
	s_cmp_eq_u32 s5, 0
	s_cbranch_scc1 .LBB7_263
; %bb.262:                              ;   in Loop: Header=BB7_264 Depth=1
	s_sleep 1
	s_cbranch_execnz .LBB7_264
	s_branch .LBB7_266
	.p2align	6
.LBB7_263:
	s_branch .LBB7_266
.LBB7_264:                              ; =>This Inner Loop Header: Depth=1
	v_mov_b32_e32 v0, 1
	s_and_saveexec_b32 s5, s4
	s_cbranch_execz .LBB7_261
; %bb.265:                              ;   in Loop: Header=BB7_264 Depth=1
	global_load_dword v0, v[10:11], off offset:20 glc dlc
	s_waitcnt vmcnt(0)
	buffer_gl1_inv
	buffer_gl0_inv
	v_and_b32_e32 v0, 1, v0
	s_branch .LBB7_261
.LBB7_266:
	global_load_dwordx2 v[0:1], v[8:9], off
	s_and_saveexec_b32 s12, s4
	s_cbranch_execz .LBB7_270
; %bb.267:
	v_mov_b32_e32 v8, 0
	s_clause 0x2
	global_load_dwordx2 v[2:3], v8, s[6:7] offset:40
	global_load_dwordx2 v[11:12], v8, s[6:7] offset:24 glc dlc
	global_load_dwordx2 v[4:5], v8, s[6:7]
	s_waitcnt vmcnt(2)
	v_readfirstlane_b32 s14, v2
	v_readfirstlane_b32 s15, v3
	s_add_u32 s13, s14, 1
	s_addc_u32 s16, s15, 0
	s_add_u32 s4, s13, s10
	s_addc_u32 s5, s16, s11
	s_cmp_eq_u64 s[4:5], 0
	s_cselect_b32 s5, s16, s5
	s_cselect_b32 s4, s13, s4
	v_mov_b32_e32 v10, s5
	s_and_b64 s[10:11], s[4:5], s[14:15]
	v_mov_b32_e32 v9, s4
	s_mul_i32 s11, s11, 24
	s_mul_hi_u32 s13, s10, 24
	s_mul_i32 s10, s10, 24
	s_add_i32 s13, s13, s11
	s_waitcnt vmcnt(0)
	v_add_co_u32 v6, vcc_lo, v4, s10
	v_add_co_ci_u32_e64 v7, null, s13, v5, vcc_lo
	global_store_dwordx2 v[6:7], v[11:12], off
	s_waitcnt_vscnt null, 0x0
	global_atomic_cmpswap_x2 v[4:5], v8, v[9:12], s[6:7] offset:24 glc
	s_waitcnt vmcnt(0)
	v_cmp_ne_u64_e32 vcc_lo, v[4:5], v[11:12]
	s_and_b32 exec_lo, exec_lo, vcc_lo
	s_cbranch_execz .LBB7_270
; %bb.268:
	s_mov_b32 s10, 0
.LBB7_269:                              ; =>This Inner Loop Header: Depth=1
	v_mov_b32_e32 v2, s4
	v_mov_b32_e32 v3, s5
	s_sleep 1
	global_store_dwordx2 v[6:7], v[4:5], off
	s_waitcnt_vscnt null, 0x0
	global_atomic_cmpswap_x2 v[2:3], v8, v[2:5], s[6:7] offset:24 glc
	s_waitcnt vmcnt(0)
	v_cmp_eq_u64_e32 vcc_lo, v[2:3], v[4:5]
	v_mov_b32_e32 v5, v3
	v_mov_b32_e32 v4, v2
	s_or_b32 s10, vcc_lo, s10
	s_andn2_b32 exec_lo, exec_lo, s10
	s_cbranch_execnz .LBB7_269
.LBB7_270:
	s_or_b32 exec_lo, exec_lo, s12
	s_getpc_b64 s[4:5]
	s_add_u32 s4, s4, __FUNCTION__._ZL18flash_attn_ext_vecILi64ELi1EL9ggml_type7ELS0_8ELb1EEvPKcS2_S2_S2_S2_PKiPfP15HIP_vector_typeIfLj2EEffffjfiS6_IjLj3EEiiiiiiiiiiiliiliiiiil@rel32@lo+4
	s_addc_u32 s5, s5, __FUNCTION__._ZL18flash_attn_ext_vecILi64ELi1EL9ggml_type7ELS0_8ELb1EEvPKcS2_S2_S2_S2_PKiPfP15HIP_vector_typeIfLj2EEffffjfiS6_IjLj3EEiiiiiiiiiiiliiliiiiil@rel32@hi+12
	v_mov_b32_e32 v2, s4
	s_cmp_lg_u64 s[4:5], 0
	v_mov_b32_e32 v3, s5
	s_cselect_b32 s10, 19, 0
	v_mov_b32_e32 v5, 0
	v_mov_b32_e32 v4, s10
	s_getpc_b64 s[6:7]
	s_add_u32 s6, s6, __ockl_printf_append_string_n@rel32@lo+4
	s_addc_u32 s7, s7, __ockl_printf_append_string_n@rel32@hi+12
	s_mov_b64 s[20:21], s[8:9]
	s_swappc_b64 s[30:31], s[6:7]
	v_mov_b32_e32 v2, 0x514
	v_mov_b32_e32 v3, 0
	;; [unrolled: 1-line block ×3, first 2 shown]
	s_getpc_b64 s[4:5]
	s_add_u32 s4, s4, __ockl_printf_append_args@rel32@lo+4
	s_addc_u32 s5, s5, __ockl_printf_append_args@rel32@hi+12
	s_mov_b64 s[8:9], s[20:21]
	s_swappc_b64 s[30:31], s[4:5]
	s_trap 2
.Lfunc_end7:
	.size	_ZL14no_device_codePKciS0_iS0_, .Lfunc_end7-_ZL14no_device_codePKciS0_iS0_
                                        ; -- End function
	.set .L_ZL14no_device_codePKciS0_iS0_.num_vgpr, max(40, .L__ockl_printf_append_string_n.num_vgpr, .L__ockl_printf_append_args.num_vgpr)
	.set .L_ZL14no_device_codePKciS0_iS0_.num_agpr, max(0, .L__ockl_printf_append_string_n.num_agpr, .L__ockl_printf_append_args.num_agpr)
	.set .L_ZL14no_device_codePKciS0_iS0_.numbered_sgpr, max(34, .L__ockl_printf_append_string_n.numbered_sgpr, .L__ockl_printf_append_args.numbered_sgpr)
	.set .L_ZL14no_device_codePKciS0_iS0_.num_named_barrier, max(0, .L__ockl_printf_append_string_n.num_named_barrier, .L__ockl_printf_append_args.num_named_barrier)
	.set .L_ZL14no_device_codePKciS0_iS0_.private_seg_size, 16+max(.L__ockl_printf_append_string_n.private_seg_size, .L__ockl_printf_append_args.private_seg_size)
	.set .L_ZL14no_device_codePKciS0_iS0_.uses_vcc, or(1, .L__ockl_printf_append_string_n.uses_vcc, .L__ockl_printf_append_args.uses_vcc)
	.set .L_ZL14no_device_codePKciS0_iS0_.uses_flat_scratch, or(0, .L__ockl_printf_append_string_n.uses_flat_scratch, .L__ockl_printf_append_args.uses_flat_scratch)
	.set .L_ZL14no_device_codePKciS0_iS0_.has_dyn_sized_stack, or(0, .L__ockl_printf_append_string_n.has_dyn_sized_stack, .L__ockl_printf_append_args.has_dyn_sized_stack)
	.set .L_ZL14no_device_codePKciS0_iS0_.has_recursion, or(0, .L__ockl_printf_append_string_n.has_recursion, .L__ockl_printf_append_args.has_recursion)
	.set .L_ZL14no_device_codePKciS0_iS0_.has_indirect_call, or(0, .L__ockl_printf_append_string_n.has_indirect_call, .L__ockl_printf_append_args.has_indirect_call)
	.section	.AMDGPU.csdata,"",@progbits
; Function info:
; codeLenInByte = 10460
; TotalNumSgprs: 36
; NumVgprs: 40
; ScratchSize: 16
; MemoryBound: 0
	.section	.text._ZL18flash_attn_ext_vecILi64ELi1EL9ggml_type7ELS0_8ELb1EEvPKcS2_S2_S2_S2_PKiPfP15HIP_vector_typeIfLj2EEffffjfiS6_IjLj3EEiiiiiiiiiiiliiliiiiil,"axG",@progbits,_ZL18flash_attn_ext_vecILi64ELi1EL9ggml_type7ELS0_8ELb1EEvPKcS2_S2_S2_S2_PKiPfP15HIP_vector_typeIfLj2EEffffjfiS6_IjLj3EEiiiiiiiiiiiliiliiiiil,comdat
	.globl	_ZL18flash_attn_ext_vecILi64ELi1EL9ggml_type7ELS0_8ELb1EEvPKcS2_S2_S2_S2_PKiPfP15HIP_vector_typeIfLj2EEffffjfiS6_IjLj3EEiiiiiiiiiiiliiliiiiil ; -- Begin function _ZL18flash_attn_ext_vecILi64ELi1EL9ggml_type7ELS0_8ELb1EEvPKcS2_S2_S2_S2_PKiPfP15HIP_vector_typeIfLj2EEffffjfiS6_IjLj3EEiiiiiiiiiiiliiliiiiil
	.p2align	8
	.type	_ZL18flash_attn_ext_vecILi64ELi1EL9ggml_type7ELS0_8ELb1EEvPKcS2_S2_S2_S2_PKiPfP15HIP_vector_typeIfLj2EEffffjfiS6_IjLj3EEiiiiiiiiiiiliiliiiiil,@function
_ZL18flash_attn_ext_vecILi64ELi1EL9ggml_type7ELS0_8ELb1EEvPKcS2_S2_S2_S2_PKiPfP15HIP_vector_typeIfLj2EEffffjfiS6_IjLj3EEiiiiiiiiiiiliiliiiiil: ; @_ZL18flash_attn_ext_vecILi64ELi1EL9ggml_type7ELS0_8ELb1EEvPKcS2_S2_S2_S2_PKiPfP15HIP_vector_typeIfLj2EEffffjfiS6_IjLj3EEiiiiiiiiiiiliiliiiiil
; %bb.0:
	s_add_u32 s0, s0, s7
	s_addc_u32 s1, s1, 0
	s_add_u32 s8, s4, 0xd0
	s_addc_u32 s9, s5, 0
	s_getpc_b64 s[4:5]
	s_add_u32 s4, s4, _ZL14no_device_codePKciS0_iS0_@rel32@lo+4
	s_addc_u32 s5, s5, _ZL14no_device_codePKciS0_iS0_@rel32@hi+12
	s_mov_b32 s32, 0
	s_swappc_b64 s[30:31], s[4:5]
	.section	.rodata,"a",@progbits
	.p2align	6, 0x0
	.amdhsa_kernel _ZL18flash_attn_ext_vecILi64ELi1EL9ggml_type7ELS0_8ELb1EEvPKcS2_S2_S2_S2_PKiPfP15HIP_vector_typeIfLj2EEffffjfiS6_IjLj3EEiiiiiiiiiiiliiliiiiil
		.amdhsa_group_segment_fixed_size 0
		.amdhsa_private_segment_fixed_size 16
		.amdhsa_kernarg_size 464
		.amdhsa_user_sgpr_count 6
		.amdhsa_user_sgpr_private_segment_buffer 1
		.amdhsa_user_sgpr_dispatch_ptr 0
		.amdhsa_user_sgpr_queue_ptr 0
		.amdhsa_user_sgpr_kernarg_segment_ptr 1
		.amdhsa_user_sgpr_dispatch_id 0
		.amdhsa_user_sgpr_flat_scratch_init 0
		.amdhsa_user_sgpr_private_segment_size 0
		.amdhsa_wavefront_size32 1
		.amdhsa_uses_dynamic_stack 0
		.amdhsa_system_sgpr_private_segment_wavefront_offset 1
		.amdhsa_system_sgpr_workgroup_id_x 1
		.amdhsa_system_sgpr_workgroup_id_y 0
		.amdhsa_system_sgpr_workgroup_id_z 0
		.amdhsa_system_sgpr_workgroup_info 0
		.amdhsa_system_vgpr_workitem_id 0
		.amdhsa_next_free_vgpr 40
		.amdhsa_next_free_sgpr 34
		.amdhsa_reserve_vcc 1
		.amdhsa_reserve_flat_scratch 0
		.amdhsa_float_round_mode_32 0
		.amdhsa_float_round_mode_16_64 0
		.amdhsa_float_denorm_mode_32 3
		.amdhsa_float_denorm_mode_16_64 3
		.amdhsa_dx10_clamp 1
		.amdhsa_ieee_mode 1
		.amdhsa_fp16_overflow 0
		.amdhsa_workgroup_processor_mode 1
		.amdhsa_memory_ordered 1
		.amdhsa_forward_progress 1
		.amdhsa_shared_vgpr_count 0
		.amdhsa_exception_fp_ieee_invalid_op 0
		.amdhsa_exception_fp_denorm_src 0
		.amdhsa_exception_fp_ieee_div_zero 0
		.amdhsa_exception_fp_ieee_overflow 0
		.amdhsa_exception_fp_ieee_underflow 0
		.amdhsa_exception_fp_ieee_inexact 0
		.amdhsa_exception_int_div_zero 0
	.end_amdhsa_kernel
	.section	.text._ZL18flash_attn_ext_vecILi64ELi1EL9ggml_type7ELS0_8ELb1EEvPKcS2_S2_S2_S2_PKiPfP15HIP_vector_typeIfLj2EEffffjfiS6_IjLj3EEiiiiiiiiiiiliiliiiiil,"axG",@progbits,_ZL18flash_attn_ext_vecILi64ELi1EL9ggml_type7ELS0_8ELb1EEvPKcS2_S2_S2_S2_PKiPfP15HIP_vector_typeIfLj2EEffffjfiS6_IjLj3EEiiiiiiiiiiiliiliiiiil,comdat
.Lfunc_end8:
	.size	_ZL18flash_attn_ext_vecILi64ELi1EL9ggml_type7ELS0_8ELb1EEvPKcS2_S2_S2_S2_PKiPfP15HIP_vector_typeIfLj2EEffffjfiS6_IjLj3EEiiiiiiiiiiiliiliiiiil, .Lfunc_end8-_ZL18flash_attn_ext_vecILi64ELi1EL9ggml_type7ELS0_8ELb1EEvPKcS2_S2_S2_S2_PKiPfP15HIP_vector_typeIfLj2EEffffjfiS6_IjLj3EEiiiiiiiiiiiliiliiiiil
                                        ; -- End function
	.set _ZL18flash_attn_ext_vecILi64ELi1EL9ggml_type7ELS0_8ELb1EEvPKcS2_S2_S2_S2_PKiPfP15HIP_vector_typeIfLj2EEffffjfiS6_IjLj3EEiiiiiiiiiiiliiliiiiil.num_vgpr, max(0, .L_ZL14no_device_codePKciS0_iS0_.num_vgpr)
	.set _ZL18flash_attn_ext_vecILi64ELi1EL9ggml_type7ELS0_8ELb1EEvPKcS2_S2_S2_S2_PKiPfP15HIP_vector_typeIfLj2EEffffjfiS6_IjLj3EEiiiiiiiiiiiliiliiiiil.num_agpr, max(0, .L_ZL14no_device_codePKciS0_iS0_.num_agpr)
	.set _ZL18flash_attn_ext_vecILi64ELi1EL9ggml_type7ELS0_8ELb1EEvPKcS2_S2_S2_S2_PKiPfP15HIP_vector_typeIfLj2EEffffjfiS6_IjLj3EEiiiiiiiiiiiliiliiiiil.numbered_sgpr, max(33, .L_ZL14no_device_codePKciS0_iS0_.numbered_sgpr)
	.set _ZL18flash_attn_ext_vecILi64ELi1EL9ggml_type7ELS0_8ELb1EEvPKcS2_S2_S2_S2_PKiPfP15HIP_vector_typeIfLj2EEffffjfiS6_IjLj3EEiiiiiiiiiiiliiliiiiil.num_named_barrier, max(0, .L_ZL14no_device_codePKciS0_iS0_.num_named_barrier)
	.set _ZL18flash_attn_ext_vecILi64ELi1EL9ggml_type7ELS0_8ELb1EEvPKcS2_S2_S2_S2_PKiPfP15HIP_vector_typeIfLj2EEffffjfiS6_IjLj3EEiiiiiiiiiiiliiliiiiil.private_seg_size, 0+max(.L_ZL14no_device_codePKciS0_iS0_.private_seg_size)
	.set _ZL18flash_attn_ext_vecILi64ELi1EL9ggml_type7ELS0_8ELb1EEvPKcS2_S2_S2_S2_PKiPfP15HIP_vector_typeIfLj2EEffffjfiS6_IjLj3EEiiiiiiiiiiiliiliiiiil.uses_vcc, or(1, .L_ZL14no_device_codePKciS0_iS0_.uses_vcc)
	.set _ZL18flash_attn_ext_vecILi64ELi1EL9ggml_type7ELS0_8ELb1EEvPKcS2_S2_S2_S2_PKiPfP15HIP_vector_typeIfLj2EEffffjfiS6_IjLj3EEiiiiiiiiiiiliiliiiiil.uses_flat_scratch, or(0, .L_ZL14no_device_codePKciS0_iS0_.uses_flat_scratch)
	.set _ZL18flash_attn_ext_vecILi64ELi1EL9ggml_type7ELS0_8ELb1EEvPKcS2_S2_S2_S2_PKiPfP15HIP_vector_typeIfLj2EEffffjfiS6_IjLj3EEiiiiiiiiiiiliiliiiiil.has_dyn_sized_stack, or(0, .L_ZL14no_device_codePKciS0_iS0_.has_dyn_sized_stack)
	.set _ZL18flash_attn_ext_vecILi64ELi1EL9ggml_type7ELS0_8ELb1EEvPKcS2_S2_S2_S2_PKiPfP15HIP_vector_typeIfLj2EEffffjfiS6_IjLj3EEiiiiiiiiiiiliiliiiiil.has_recursion, or(0, .L_ZL14no_device_codePKciS0_iS0_.has_recursion)
	.set _ZL18flash_attn_ext_vecILi64ELi1EL9ggml_type7ELS0_8ELb1EEvPKcS2_S2_S2_S2_PKiPfP15HIP_vector_typeIfLj2EEffffjfiS6_IjLj3EEiiiiiiiiiiiliiliiiiil.has_indirect_call, or(0, .L_ZL14no_device_codePKciS0_iS0_.has_indirect_call)
	.section	.AMDGPU.csdata,"",@progbits
; Kernel info:
; codeLenInByte = 48
; TotalNumSgprs: 36
; NumVgprs: 40
; ScratchSize: 16
; MemoryBound: 0
; FloatMode: 240
; IeeeMode: 1
; LDSByteSize: 0 bytes/workgroup (compile time only)
; SGPRBlocks: 0
; VGPRBlocks: 4
; NumSGPRsForWavesPerEU: 36
; NumVGPRsForWavesPerEU: 40
; Occupancy: 16
; WaveLimiterHint : 1
; COMPUTE_PGM_RSRC2:SCRATCH_EN: 1
; COMPUTE_PGM_RSRC2:USER_SGPR: 6
; COMPUTE_PGM_RSRC2:TRAP_HANDLER: 0
; COMPUTE_PGM_RSRC2:TGID_X_EN: 1
; COMPUTE_PGM_RSRC2:TGID_Y_EN: 0
; COMPUTE_PGM_RSRC2:TGID_Z_EN: 0
; COMPUTE_PGM_RSRC2:TIDIG_COMP_CNT: 0
	.section	.text._ZL18flash_attn_ext_vecILi64ELi2EL9ggml_type7ELS0_8ELb0EEvPKcS2_S2_S2_S2_PKiPfP15HIP_vector_typeIfLj2EEffffjfiS6_IjLj3EEiiiiiiiiiiiliiliiiiil,"axG",@progbits,_ZL18flash_attn_ext_vecILi64ELi2EL9ggml_type7ELS0_8ELb0EEvPKcS2_S2_S2_S2_PKiPfP15HIP_vector_typeIfLj2EEffffjfiS6_IjLj3EEiiiiiiiiiiiliiliiiiil,comdat
	.globl	_ZL18flash_attn_ext_vecILi64ELi2EL9ggml_type7ELS0_8ELb0EEvPKcS2_S2_S2_S2_PKiPfP15HIP_vector_typeIfLj2EEffffjfiS6_IjLj3EEiiiiiiiiiiiliiliiiiil ; -- Begin function _ZL18flash_attn_ext_vecILi64ELi2EL9ggml_type7ELS0_8ELb0EEvPKcS2_S2_S2_S2_PKiPfP15HIP_vector_typeIfLj2EEffffjfiS6_IjLj3EEiiiiiiiiiiiliiliiiiil
	.p2align	8
	.type	_ZL18flash_attn_ext_vecILi64ELi2EL9ggml_type7ELS0_8ELb0EEvPKcS2_S2_S2_S2_PKiPfP15HIP_vector_typeIfLj2EEffffjfiS6_IjLj3EEiiiiiiiiiiiliiliiiiil,@function
_ZL18flash_attn_ext_vecILi64ELi2EL9ggml_type7ELS0_8ELb0EEvPKcS2_S2_S2_S2_PKiPfP15HIP_vector_typeIfLj2EEffffjfiS6_IjLj3EEiiiiiiiiiiiliiliiiiil: ; @_ZL18flash_attn_ext_vecILi64ELi2EL9ggml_type7ELS0_8ELb0EEvPKcS2_S2_S2_S2_PKiPfP15HIP_vector_typeIfLj2EEffffjfiS6_IjLj3EEiiiiiiiiiiiliiliiiiil
; %bb.0:
	s_clause 0x2
	s_load_dwordx2 s[36:37], s[6:7], 0x64
	s_load_dwordx2 s[40:41], s[6:7], 0x80
	s_load_dwordx2 s[42:43], s[6:7], 0xb8
	s_mov_b32 s34, s9
	s_load_dwordx4 s[28:31], s[6:7], 0x40
	v_mov_b32_e32 v36, 1.0
	s_waitcnt lgkmcnt(0)
	v_cvt_f32_u32_e32 v3, s37
	s_sub_i32 s1, 0, s37
	v_rcp_iflag_f32_e32 v3, v3
	v_mul_f32_e32 v3, 0x4f7ffffe, v3
	v_cvt_u32_f32_e32 v3, v3
	v_readfirstlane_b32 s0, v3
	s_mul_i32 s1, s1, s0
	s_mul_hi_u32 s1, s0, s1
	s_add_i32 s0, s0, s1
	s_mul_hi_u32 s0, s10, s0
	s_mul_i32 s1, s0, s37
	s_add_i32 s2, s0, 1
	s_sub_i32 s1, s10, s1
	s_sub_i32 s3, s1, s37
	s_cmp_ge_u32 s1, s37
	s_cselect_b32 s0, s2, s0
	s_cselect_b32 s1, s3, s1
	s_add_i32 s2, s0, 1
	s_cmp_ge_u32 s1, s37
	s_cselect_b32 s33, s2, s0
	s_abs_i32 s0, s41
	s_abs_i32 s9, s37
	v_cvt_f32_u32_e32 v3, s0
	s_sub_i32 s2, 0, s0
	s_xor_b32 s3, s37, s41
	s_ashr_i32 s3, s3, 31
	v_rcp_iflag_f32_e32 v3, v3
	v_mul_f32_e32 v3, 0x4f7ffffe, v3
	v_cvt_u32_f32_e32 v3, v3
	v_readfirstlane_b32 s1, v3
	s_mul_i32 s2, s2, s1
	s_mul_hi_u32 s2, s1, s2
	s_add_i32 s1, s1, s2
	s_mul_i32 s2, s33, s37
	s_mul_hi_u32 s1, s9, s1
	s_sub_i32 s38, s10, s2
	s_mul_i32 s11, s1, s0
	s_sub_i32 s2, s9, s11
	s_add_i32 s9, s1, 1
	s_sub_i32 s10, s2, s0
	s_cmp_ge_u32 s2, s0
	s_cselect_b32 s1, s9, s1
	s_cselect_b32 s2, s10, s2
	s_add_i32 s9, s1, 1
	s_cmp_ge_u32 s2, s0
	s_cselect_b32 s0, s9, s1
	s_abs_i32 s35, s42
	s_xor_b32 s0, s0, s3
	v_cvt_f32_u32_e32 v3, s35
	s_sub_i32 s41, s0, s3
	s_load_dword s0, s[6:7], 0x50
	s_abs_i32 s39, s41
	v_cmp_le_f32_e64 s1, s29, 0
	v_cvt_f32_u32_e32 v4, s39
	v_rcp_iflag_f32_e32 v3, v3
	s_and_b32 vcc_lo, exec_lo, s1
	v_rcp_iflag_f32_e32 v4, v4
	v_mul_f32_e32 v3, 0x4f7ffffe, v3
	v_mul_f32_e32 v4, 0x4f7ffffe, v4
	v_cvt_u32_f32_e32 v3, v3
	v_cvt_u32_f32_e32 v4, v4
	v_readfirstlane_b32 s29, v3
	v_readfirstlane_b32 s42, v4
	s_cbranch_vccnz .LBB9_2
; %bb.1:
	s_waitcnt lgkmcnt(0)
	v_sub_co_u32 v4, vcc_lo, s38, s0
	v_mov_b32_e32 v3, s30
	s_add_i32 s0, s38, 1
	v_lshlrev_b32_e32 v4, 1, v4
	v_cndmask_b32_e32 v3, s31, v3, vcc_lo
	v_or_b32_e32 v4, 1, v4
	v_cndmask_b32_e64 v4, v4, s0, vcc_lo
	v_cmp_neq_f32_e32 vcc_lo, 1.0, v3
	s_mov_b32 s0, 0x3e76c4e1
	v_cvt_f32_i32_e32 v4, v4
	v_cndmask_b32_e32 v5, 1.0, v4, vcc_lo
	v_cmp_neq_f32_e32 vcc_lo, 0, v5
	v_cndmask_b32_e32 v6, 1.0, v3, vcc_lo
	v_frexp_mant_f32_e64 v3, |v6|
	v_cmp_eq_f32_e64 s2, 0, v6
	v_cmp_gt_f32_e32 vcc_lo, 0x3f2aaaab, v3
	v_cndmask_b32_e64 v4, 1.0, 2.0, vcc_lo
	v_mul_f32_e32 v3, v3, v4
	v_add_f32_e32 v4, 1.0, v3
	v_add_f32_e32 v8, -1.0, v3
	v_rcp_f32_e32 v7, v4
	v_add_f32_e32 v10, -1.0, v4
	v_sub_f32_e32 v3, v3, v10
	v_mul_f32_e32 v9, v8, v7
	v_mul_f32_e32 v11, v4, v9
	v_fma_f32 v4, v9, v4, -v11
	v_fmac_f32_e32 v4, v9, v3
	v_add_f32_e32 v3, v11, v4
	v_sub_f32_e32 v10, v8, v3
	v_sub_f32_e32 v11, v3, v11
	;; [unrolled: 1-line block ×5, first 2 shown]
	v_add_f32_e32 v3, v4, v3
	v_add_f32_e32 v3, v10, v3
	v_mul_f32_e32 v3, v7, v3
	v_add_f32_e32 v7, v9, v3
	v_sub_f32_e32 v4, v7, v9
	v_mul_f32_e32 v8, v7, v7
	v_sub_f32_e32 v9, v3, v4
	v_fma_f32 v3, v7, v7, -v8
	v_add_f32_e32 v4, v9, v9
	v_fmac_f32_e32 v3, v7, v4
	v_add_f32_e32 v10, v8, v3
	v_fmaak_f32 v4, s0, v10, 0x3e91f4c4
	v_sub_f32_e32 v8, v10, v8
	v_mul_f32_e32 v15, v7, v10
	v_fmaak_f32 v4, v10, v4, 0x3ecccdef
	v_sub_f32_e32 v8, v3, v8
	v_fma_f32 v16, v10, v7, -v15
	v_mul_f32_e32 v11, v10, v4
	v_fmac_f32_e32 v16, v10, v9
	v_ldexp_f32 v9, v9, 1
	v_fma_f32 v12, v10, v4, -v11
	v_fmac_f32_e32 v16, v8, v7
	v_fmac_f32_e32 v12, v8, v4
	v_cvt_f64_f32_e64 v[3:4], |v6|
	v_add_f32_e32 v13, v11, v12
	v_sub_f32_e32 v11, v13, v11
	v_add_f32_e32 v14, 0x3f2aaaaa, v13
	v_sub_f32_e32 v11, v12, v11
	v_add_f32_e32 v12, 0xbf2aaaaa, v14
	v_add_f32_e32 v11, 0x31739010, v11
	v_sub_f32_e32 v12, v13, v12
	v_frexp_exp_i32_f64_e32 v3, v[3:4]
	v_add_f32_e32 v10, v11, v12
	v_add_f32_e32 v11, v15, v16
	;; [unrolled: 1-line block ×3, first 2 shown]
	v_sub_f32_e32 v13, v11, v15
	v_sub_f32_e32 v4, v14, v8
	v_mul_f32_e32 v12, v11, v8
	v_sub_f32_e32 v13, v16, v13
	v_add_f32_e32 v4, v10, v4
	v_fma_f32 v10, v11, v8, -v12
	v_subrev_co_ci_u32_e64 v3, null, 0, v3, vcc_lo
	v_fmac_f32_e32 v10, v11, v4
	v_ldexp_f32 v4, v7, 1
	v_cvt_f32_i32_e32 v3, v3
	v_fmac_f32_e32 v10, v13, v8
	v_add_f32_e32 v7, v12, v10
	v_add_f32_e32 v8, v4, v7
	v_sub_f32_e32 v11, v7, v12
	v_mul_f32_e32 v12, 0x3f317218, v3
	v_sub_f32_e32 v4, v8, v4
	v_sub_f32_e32 v10, v10, v11
	v_fma_f32 v11, 0x3f317218, v3, -v12
	v_sub_f32_e32 v4, v7, v4
	v_add_f32_e32 v7, v9, v10
	v_fmamk_f32 v3, v3, 0xb102e308, v11
	v_add_f32_e32 v4, v7, v4
	v_add_f32_e32 v7, v12, v3
	;; [unrolled: 1-line block ×3, first 2 shown]
	v_sub_f32_e32 v12, v7, v12
	v_add_f32_e32 v10, v7, v9
	v_sub_f32_e32 v8, v9, v8
	v_sub_f32_e32 v3, v3, v12
	;; [unrolled: 1-line block ×6, first 2 shown]
	v_add_f32_e32 v9, v3, v4
	v_sub_f32_e32 v7, v7, v13
	v_add_f32_e32 v7, v8, v7
	v_sub_f32_e32 v8, v9, v3
	;; [unrolled: 2-line block ×3, first 2 shown]
	v_sub_f32_e32 v4, v4, v8
	v_add_f32_e32 v11, v10, v7
	v_sub_f32_e32 v3, v3, v9
	v_sub_f32_e32 v8, v11, v10
	v_add_f32_e32 v3, v4, v3
	v_sub_f32_e32 v4, v7, v8
	v_add_f32_e32 v3, v3, v4
	v_add_f32_e32 v4, v11, v3
	v_sub_f32_e32 v7, v4, v11
	v_mul_f32_e32 v8, v5, v4
	v_sub_f32_e32 v3, v3, v7
	v_fma_f32 v4, v5, v4, -v8
	v_cmp_class_f32_e64 vcc_lo, v8, 0x204
	v_fmac_f32_e32 v4, v5, v3
	v_add_f32_e32 v3, v8, v4
	v_cndmask_b32_e32 v7, v3, v8, vcc_lo
	v_sub_f32_e32 v3, v3, v8
	v_cmp_eq_f32_e32 vcc_lo, 0x42b17218, v7
	v_sub_f32_e32 v3, v4, v3
	v_cndmask_b32_e64 v9, 0, 0x37000000, vcc_lo
	v_cmp_neq_f32_e64 vcc_lo, 0x7f800000, |v7|
	v_sub_f32_e32 v10, v7, v9
	v_cndmask_b32_e32 v3, 0, v3, vcc_lo
	v_trunc_f32_e32 v7, v5
	v_mul_f32_e32 v11, 0x3fb8aa3b, v10
	v_cmp_ngt_f32_e32 vcc_lo, 0xc2ce8ed0, v10
	v_add_f32_e32 v3, v9, v3
	v_fma_f32 v12, 0x3fb8aa3b, v10, -v11
	v_rndne_f32_e32 v13, v11
	v_fmamk_f32 v12, v10, 0x32a5705f, v12
	v_sub_f32_e32 v11, v11, v13
	v_cvt_i32_f32_e32 v8, v13
	v_add_f32_e32 v11, v11, v12
	v_exp_f32_e32 v11, v11
	v_ldexp_f32 v4, v11, v8
	v_mul_f32_e32 v8, 0.5, v5
	v_cndmask_b32_e32 v4, 0, v4, vcc_lo
	v_cmp_nlt_f32_e32 vcc_lo, 0x42b17218, v10
	v_trunc_f32_e32 v11, v8
	v_cndmask_b32_e32 v4, 0x7f800000, v4, vcc_lo
	v_cmp_eq_f32_e32 vcc_lo, v7, v5
	v_cmp_neq_f32_e64 s0, v11, v8
	v_fma_f32 v3, v4, v3, v4
	v_cmp_class_f32_e64 s1, v4, 0x204
	s_and_b32 s0, vcc_lo, s0
	v_cndmask_b32_e64 v7, 1.0, v6, s0
	v_cndmask_b32_e64 v3, v3, v4, s1
	v_cmp_gt_f32_e64 s1, 0, v5
	v_bfi_b32 v3, 0x7fffffff, v3, v7
	s_xor_b32 s1, s1, s2
	v_cndmask_b32_e64 v7, 0, v6, s0
	v_cndmask_b32_e64 v4, 0x7f800000, 0, s1
	v_cmp_class_f32_e64 s0, v6, 0x204
	v_cndmask_b32_e32 v5, 0x7fc00000, v3, vcc_lo
	v_cmp_gt_f32_e32 vcc_lo, 0, v6
	v_bfi_b32 v4, 0x7fffffff, v4, v7
	v_cndmask_b32_e32 v3, v3, v5, vcc_lo
	s_or_b32 vcc_lo, s2, s0
	v_cndmask_b32_e32 v3, v3, v4, vcc_lo
	v_cmp_o_f32_e32 vcc_lo, v6, v6
	v_cndmask_b32_e32 v36, 0x7fc00000, v3, vcc_lo
.LBB9_2:
	s_waitcnt lgkmcnt(0)
	s_load_dwordx2 s[0:1], s[4:5], 0x4
	s_load_dwordx16 s[12:27], s[6:7], 0x0
	v_mov_b32_e32 v6, 0
	v_lshlrev_b32_e32 v34, 2, v0
	s_lshl_b32 s30, s8, 1
	s_mov_b32 s4, exec_lo
	s_waitcnt lgkmcnt(0)
	v_mul_u32_u24_e32 v3, s1, v1
	s_lshr_b32 s0, s0, 16
	s_mul_i32 s0, s0, s1
	v_mad_u32_u24 v3, s0, v0, v3
	v_cmp_lt_u32_e64 s0, 1, v1
	v_add_lshl_u32 v10, v3, v2, 4
	v_add_nc_u32_e32 v2, 0x604, v10
	v_add_nc_u32_e32 v3, 0x400, v10
	ds_write2_b32 v2, v6, v6 offset1:1
	ds_write2_b32 v3, v6, v6 offset0:128 offset1:131
	v_cmpx_gt_u32_e32 2, v1
	s_cbranch_execz .LBB9_23
; %bb.3:
	v_lshlrev_b32_e32 v5, 7, v1
	v_or_b32_e32 v2, s30, v1
	s_mov_b32 s2, exec_lo
	v_cmp_gt_u32_e32 vcc_lo, 16, v0
	v_add_nc_u32_e32 v4, v5, v34
	v_cmpx_le_i32_e64 s36, v2
	s_xor_b32 s2, exec_lo, s2
	s_cbranch_execz .LBB9_9
; %bb.4:
	s_and_saveexec_b32 s1, vcc_lo
; %bb.5:
	v_mov_b32_e32 v2, 0
	ds_write_b32 v4, v2
; %bb.6:
	s_or_b32 exec_lo, exec_lo, s1
	s_mov_b32 s3, exec_lo
	v_cmpx_gt_u32_e32 2, v0
	s_cbranch_execz .LBB9_8
; %bb.7:
	v_mov_b32_e32 v2, 0
	v_add_nc_u32_e32 v4, v4, v34
	v_mov_b32_e32 v3, v2
	ds_write_b64 v4, v[2:3] offset:64
.LBB9_8:
	s_or_b32 exec_lo, exec_lo, s3
                                        ; implicit-def: $vgpr4
                                        ; implicit-def: $vgpr5
.LBB9_9:
	s_andn2_saveexec_b32 s1, s2
	s_cbranch_execz .LBB9_23
; %bb.10:
	s_load_dwordx4 s[44:47], s[6:7], 0x70
	v_lshlrev_b32_e32 v3, 2, v34
	s_waitcnt lgkmcnt(0)
	v_mul_lo_u32 v2, s44, v1
	s_mul_i32 s1, s33, s46
	s_mul_i32 s2, s44, s30
	;; [unrolled: 1-line block ×3, first 2 shown]
	s_add_i32 s1, s1, s2
	s_add_i32 s1, s1, s3
	s_ashr_i32 s2, s1, 31
	v_ashrrev_i32_e32 v7, 31, v2
	s_add_u32 s1, s12, s1
	s_addc_u32 s2, s13, s2
	v_add_co_u32 v2, s1, s1, v2
	v_add_co_ci_u32_e64 v8, null, s2, v7, s1
	v_mov_b32_e32 v7, 0
	v_add_co_u32 v2, s1, v2, v3
	v_add_co_ci_u32_e64 v3, null, 0, v8, s1
	v_mov_b32_e32 v8, 0
	s_and_saveexec_b32 s1, vcc_lo
	s_cbranch_execz .LBB9_12
; %bb.11:
	global_load_dword v8, v[2:3], off
	s_waitcnt vmcnt(0)
	v_mul_f32_e32 v8, s28, v8
.LBB9_12:
	s_or_b32 exec_lo, exec_lo, s1
	s_and_saveexec_b32 s1, vcc_lo
	s_cbranch_execz .LBB9_14
; %bb.13:
	global_load_dword v7, v[2:3], off offset:4
	s_waitcnt vmcnt(0)
	v_mul_f32_e32 v7, s28, v7
.LBB9_14:
	s_or_b32 exec_lo, exec_lo, s1
	v_mov_b32_e32 v9, 0
	v_mov_b32_e32 v11, 0
	s_and_saveexec_b32 s1, vcc_lo
	s_cbranch_execz .LBB9_16
; %bb.15:
	global_load_dword v11, v[2:3], off offset:8
	s_waitcnt vmcnt(0)
	v_mul_f32_e32 v11, s28, v11
.LBB9_16:
	s_or_b32 exec_lo, exec_lo, s1
	s_and_saveexec_b32 s1, vcc_lo
	s_cbranch_execz .LBB9_18
; %bb.17:
	global_load_dword v2, v[2:3], off offset:12
	s_waitcnt vmcnt(0)
	v_mul_f32_e32 v9, s28, v2
.LBB9_18:
	s_or_b32 exec_lo, exec_lo, s1
	v_mbcnt_lo_u32_b32 v2, -1, 0
	v_max_f32_e64 v3, |v7|, |v7|
	v_max_f32_e64 v12, |v8|, |v8|
	s_mov_b32 s5, exec_lo
	v_xor_b32_e32 v13, 4, v2
	v_xor_b32_e32 v14, 2, v2
	v_max_f32_e32 v3, v12, v3
	v_xor_b32_e32 v15, 1, v2
	v_cmp_gt_i32_e32 vcc_lo, 32, v13
	v_max3_f32 v3, v3, |v11|, |v9|
	v_cndmask_b32_e32 v12, v2, v13, vcc_lo
	v_cmp_gt_i32_e32 vcc_lo, 32, v14
	v_lshlrev_b32_e32 v12, 2, v12
	v_cndmask_b32_e32 v14, v2, v14, vcc_lo
	v_cmp_gt_i32_e32 vcc_lo, 32, v15
	ds_bpermute_b32 v13, v12, v3
	v_lshlrev_b32_e32 v14, 2, v14
	v_cndmask_b32_e32 v2, v2, v15, vcc_lo
	v_add_f32_e32 v15, v8, v7
	v_lshlrev_b32_e32 v2, 2, v2
	v_add_f32_e32 v15, v15, v11
	v_add_f32_e32 v15, v15, v9
	ds_bpermute_b32 v12, v12, v15
	s_waitcnt lgkmcnt(1)
	v_max_f32_e32 v13, v13, v13
	v_max_f32_e32 v3, v3, v13
	ds_bpermute_b32 v13, v14, v3
	s_waitcnt lgkmcnt(0)
	v_max_f32_e32 v13, v13, v13
	v_max_f32_e32 v3, v3, v13
	;; [unrolled: 4-line block ×3, first 2 shown]
	v_add_f32_e32 v3, v15, v12
	v_div_scale_f32 v16, null, 0x42fe0000, 0x42fe0000, v13
	ds_bpermute_b32 v14, v14, v3
	v_div_scale_f32 v15, vcc_lo, v13, 0x42fe0000, v13
	v_rcp_f32_e32 v17, v16
	v_fma_f32 v12, -v16, v17, 1.0
	v_fmac_f32_e32 v17, v12, v17
	s_waitcnt lgkmcnt(0)
	v_add_f32_e32 v3, v3, v14
	v_mul_f32_e32 v18, v15, v17
	v_fma_f32 v12, -v16, v18, v15
	v_fmac_f32_e32 v18, v12, v17
	ds_bpermute_b32 v12, v2, v3
	v_fma_f32 v2, -v16, v18, v15
	v_div_fmas_f32 v2, v2, v17, v18
	v_div_fixup_f32 v2, v2, 0x42fe0000, v13
	v_mov_b32_e32 v13, 0
	v_cmpx_neq_f32_e32 0, v2
	s_cbranch_execz .LBB9_20
; %bb.19:
	v_div_scale_f32 v13, null, v2, v2, v8
	v_div_scale_f32 v14, null, v2, v2, v7
	;; [unrolled: 1-line block ×3, first 2 shown]
	v_rcp_f32_e32 v15, v13
	v_div_scale_f32 v17, null, v2, v2, v9
	v_rcp_f32_e32 v18, v14
	v_rcp_f32_e32 v19, v16
	v_div_scale_f32 v23, vcc_lo, v8, v2, v8
	v_rcp_f32_e32 v20, v17
	v_fma_f32 v21, -v13, v15, 1.0
	v_fma_f32 v22, -v14, v18, 1.0
	;; [unrolled: 1-line block ×3, first 2 shown]
	v_fmac_f32_e32 v15, v21, v15
	v_div_scale_f32 v21, s1, v7, v2, v7
	v_fma_f32 v25, -v17, v20, 1.0
	v_fmac_f32_e32 v18, v22, v18
	v_fmac_f32_e32 v19, v24, v19
	v_div_scale_f32 v22, s2, v11, v2, v11
	v_fmac_f32_e32 v20, v25, v20
	v_mul_f32_e32 v25, v23, v15
	v_mul_f32_e32 v26, v21, v18
	;; [unrolled: 1-line block ×3, first 2 shown]
	v_div_scale_f32 v24, s3, v9, v2, v9
	v_fma_f32 v29, -v13, v25, v23
	v_fma_f32 v30, -v14, v26, v21
	v_fma_f32 v31, -v16, v27, v22
	v_mul_f32_e32 v28, v24, v20
	v_fmac_f32_e32 v25, v29, v15
	v_fmac_f32_e32 v26, v30, v18
	;; [unrolled: 1-line block ×3, first 2 shown]
	v_fma_f32 v32, -v17, v28, v24
	v_fma_f32 v13, -v13, v25, v23
	;; [unrolled: 1-line block ×4, first 2 shown]
	v_fmac_f32_e32 v28, v32, v20
	v_div_fmas_f32 v13, v13, v15, v25
	s_mov_b32 vcc_lo, s1
	v_div_fmas_f32 v14, v14, v18, v26
	s_mov_b32 vcc_lo, s2
	v_div_fixup_f32 v8, v13, v2, v8
	v_div_fmas_f32 v15, v16, v19, v27
	v_fma_f32 v16, -v17, v28, v24
	s_mov_b32 vcc_lo, s3
	v_div_fixup_f32 v7, v14, v2, v7
	v_div_fixup_f32 v11, v15, v2, v11
	v_div_fmas_f32 v15, v16, v20, v28
	v_trunc_f32_e32 v14, v7
	v_trunc_f32_e32 v16, v11
	v_div_fixup_f32 v9, v15, v2, v9
	v_trunc_f32_e32 v15, v8
	v_sub_f32_e32 v18, v7, v14
	v_sub_f32_e32 v13, v11, v16
	v_trunc_f32_e32 v17, v9
	v_sub_f32_e32 v20, v8, v15
	v_cmp_ge_f32_e64 s1, |v13|, 0.5
	v_sub_f32_e32 v19, v9, v17
	v_cndmask_b32_e64 v13, 0, 1.0, s1
	v_cmp_ge_f32_e64 s1, |v18|, 0.5
	v_bfi_b32 v11, 0x7fffffff, v13, v11
	v_cndmask_b32_e64 v13, 0, 1.0, s1
	v_cmp_ge_f32_e64 s1, |v19|, 0.5
	v_add_f32_e32 v11, v16, v11
	v_bfi_b32 v7, 0x7fffffff, v13, v7
	v_cndmask_b32_e64 v18, 0, 1.0, s1
	v_cmp_ge_f32_e64 s1, |v20|, 0.5
	v_mov_b32_e32 v13, 8
	v_cvt_i32_f32_e32 v11, v11
	v_add_f32_e32 v7, v14, v7
	v_bfi_b32 v9, 0x7fffffff, v18, v9
	v_cndmask_b32_e64 v16, 0, 1.0, s1
	v_and_b32_e32 v11, 0xff, v11
	v_cvt_i32_f32_e32 v7, v7
	v_add_f32_e32 v9, v17, v9
	v_bfi_b32 v8, 0x7fffffff, v16, v8
	v_lshlrev_b32_e32 v11, 16, v11
	v_lshlrev_b32_sdwa v7, v13, v7 dst_sel:DWORD dst_unused:UNUSED_PAD src0_sel:DWORD src1_sel:BYTE_0
	v_cvt_i32_f32_e32 v9, v9
	v_add_f32_e32 v8, v15, v8
	v_lshl_or_b32 v9, v9, 24, v11
	v_cvt_i32_f32_e32 v8, v8
	v_and_b32_e32 v8, 0xff, v8
	v_or3_b32 v13, v9, v7, v8
.LBB9_20:
	s_or_b32 exec_lo, exec_lo, s5
	v_and_b32_e32 v7, 0x77, v0
	s_mov_b32 s1, exec_lo
	ds_write_b32 v4, v13
	v_cmpx_eq_u32_e32 0, v7
	s_cbranch_execz .LBB9_22
; %bb.21:
	s_waitcnt lgkmcnt(1)
	v_add_f32_e32 v3, v3, v12
	v_add_nc_u32_e32 v4, v5, v0
	ds_write_b64 v4, v[2:3] offset:64
.LBB9_22:
	s_or_b32 exec_lo, exec_lo, s1
.LBB9_23:
	s_or_b32 exec_lo, exec_lo, s4
	v_and_b32_e32 v11, 1, v0
	s_waitcnt lgkmcnt(0)
	s_barrier
	buffer_gl0_inv
	s_cmp_eq_u64 s[22:23], 0
	v_lshlrev_b32_e32 v38, 2, v11
	s_mov_b32 s31, s40
	ds_read2_b32 v[14:15], v38 offset1:2
	ds_read2_b32 v[16:17], v38 offset0:4 offset1:6
	ds_read2_b32 v[18:19], v38 offset0:8 offset1:10
	;; [unrolled: 1-line block ×4, first 2 shown]
	ds_read_b128 v[2:5], v6 offset:64
	ds_read_b128 v[6:9], v6 offset:192
	ds_read2_b32 v[24:25], v38 offset0:36 offset1:38
	ds_read2_b32 v[26:27], v38 offset0:40 offset1:42
	;; [unrolled: 1-line block ×3, first 2 shown]
	s_waitcnt lgkmcnt(0)
	s_barrier
	buffer_gl0_inv
	s_cbranch_scc1 .LBB9_25
; %bb.24:
	s_load_dword s1, s[6:7], 0xd0
	s_mov_b32 s3, 0
	s_waitcnt lgkmcnt(0)
	s_mul_i32 s1, s1, s33
	s_add_i32 s2, s1, s8
	s_lshl_b64 s[2:3], s[2:3], 2
	s_add_u32 s2, s22, s2
	s_addc_u32 s3, s23, s3
	s_load_dword s31, s[2:3], 0x0
.LBB9_25:
	v_lshlrev_b32_e32 v13, 5, v1
	v_add_nc_u32_e32 v35, 0x600, v10
	v_mbcnt_lo_u32_b32 v37, -1, 0
	s_lshl_b32 s2, s34, 7
	s_mov_b32 s3, 0
	v_add_nc_u32_e32 v32, v13, v0
	s_waitcnt lgkmcnt(0)
	s_cmp_ge_i32 s2, s31
	v_lshlrev_b32_e32 v33, 1, v32
	s_cbranch_scc1 .LBB9_37
; %bb.26:
	s_clause 0x1
	s_load_dwordx4 s[8:11], s[6:7], 0x98
	s_load_dwordx2 s[12:13], s[6:7], 0x8c
	s_sub_i32 s1, 0, s39
	s_sub_i32 s4, 0, s35
	s_mul_i32 s1, s1, s42
	s_abs_i32 s22, s38
	s_mul_hi_u32 s1, s42, s1
	s_mul_i32 s4, s4, s29
	s_add_i32 s42, s42, s1
	s_ashr_i32 s23, s38, 31
	s_ashr_i32 s41, s41, 31
	;; [unrolled: 1-line block ×3, first 2 shown]
	s_mul_hi_u32 s1, s29, s4
	s_mul_hi_u32 s4, s22, s42
	s_xor_b32 s44, s23, s41
	s_add_i32 s29, s29, s1
	s_mul_i32 s1, s4, s39
	s_abs_i32 s28, s33
	s_sub_i32 s1, s22, s1
	s_add_i32 s23, s4, 1
	s_waitcnt lgkmcnt(0)
	s_mul_hi_u32 s41, s8, s33
	s_mul_i32 s42, s8, s5
	s_mul_i32 s9, s9, s33
	s_add_i32 s41, s41, s42
	v_and_b32_e32 v10, 0x7e, v0
	s_add_i32 s41, s41, s9
	s_sub_i32 s9, s1, s39
	s_cmp_ge_u32 s1, s39
	v_bfe_u32 v41, v0, 3, 1
	s_cselect_b32 s4, s23, s4
	s_cselect_b32 s1, s9, s1
	s_add_i32 s9, s4, 1
	s_cmp_ge_u32 s1, s39
	s_load_dwordx2 s[22:23], s[6:7], 0xc8
	s_cselect_b32 s1, s9, s4
	s_mul_hi_u32 s4, s28, s29
	s_xor_b32 s1, s1, s44
	s_mul_i32 s4, s4, s35
	s_sub_i32 s42, s1, s44
	s_sub_i32 s1, s28, s4
	s_mul_i32 s45, s42, s13
	s_mul_i32 s42, s42, s11
	s_ashr_i32 s46, s45, 31
	s_ashr_i32 s44, s42, 31
	s_sub_i32 s4, s1, s35
	s_cmp_ge_u32 s1, s35
	s_clause 0x1
	s_load_dword s9, s[6:7], 0xd4
	s_load_dwordx2 s[28:29], s[6:7], 0xa8
	s_cselect_b32 s1, s4, s1
	s_mul_i32 s11, s43, s30
	s_sub_i32 s4, s1, s35
	s_cmp_ge_u32 s1, s35
	v_add_nc_u32_e32 v10, v13, v10
	s_cselect_b32 s1, s4, s1
	v_lshrrev_b32_e32 v39, 4, v0
	s_xor_b32 s1, s1, s5
	v_mul_hi_u32_u24_e32 v42, 34, v41
	s_sub_i32 s1, s1, s5
	v_add_nc_u32_e32 v30, s40, v10
	s_ashr_i32 s4, s1, 31
	s_waitcnt lgkmcnt(0)
	s_mul_hi_u32 s13, s22, s1
	s_mul_i32 s4, s22, s4
	s_mul_i32 s23, s23, s1
	s_add_i32 s43, s13, s4
	s_ashr_i32 s13, s11, 31
	s_add_i32 s43, s43, s23
	s_cmp_lg_u64 s[18:19], 0
	s_mul_i32 s47, s22, s1
	s_cselect_b32 s22, -1, 0
	s_lshl_b32 s4, s9, 7
	s_cmp_lt_i32 s30, s36
	v_ashrrev_i32_e32 v31, 31, v30
	s_cselect_b32 s1, -1, 0
	s_or_b32 s9, s30, 1
	s_and_b32 s35, s22, s1
	s_cmp_lt_i32 s9, s36
	v_mul_u32_u24_e32 v41, 34, v41
	s_cselect_b32 s9, -1, 0
	v_cmp_eq_u32_e64 s1, 0, v11
	s_and_b32 s39, s22, s9
	v_or_b32_e32 v12, v13, v39
	v_add_nc_u32_e32 v11, v13, v39
	s_ashr_i32 s9, s40, 31
	v_add_co_u32 v39, s22, s40, v10
	s_add_u32 s40, s14, s45
	v_add_co_ci_u32_e64 v40, null, s9, 0, s22
	s_addc_u32 s48, s15, s46
	s_lshl_b64 s[22:23], s[2:3], 1
	v_lshlrev_b64 v[30:31], 1, v[30:31]
	v_mad_u64_u32 v[43:44], null, s28, s33, v[41:42]
	s_add_u32 s9, s18, s22
	s_addc_u32 s49, s19, s23
	s_add_u32 s9, s9, s47
	v_mul_lo_u32 v13, s10, v11
	s_addc_u32 s49, s49, s43
	s_mul_i32 s29, s29, s33
	s_mul_i32 s5, s28, s5
	v_add_co_u32 v41, vcc_lo, s9, v30
	v_add_co_ci_u32_e64 v42, null, s49, v31, vcc_lo
	v_add3_u32 v44, s5, s29, v44
	v_lshlrev_b64 v[30:31], 1, v[39:40]
	v_add_co_u32 v39, vcc_lo, v43, s42
	v_and_b32_e32 v45, 28, v34
	v_add_co_ci_u32_e64 v40, null, s44, v44, vcc_lo
	v_ashrrev_i32_e32 v46, 31, v13
	v_add_co_u32 v30, vcc_lo, s9, v30
	v_add_co_ci_u32_e64 v31, null, s49, v31, vcc_lo
	v_add_co_u32 v39, vcc_lo, v39, v13
	v_add_nc_u32_e32 v47, 30, v11
	v_add_co_ci_u32_e64 v40, null, v40, v46, vcc_lo
	v_add_co_u32 v45, vcc_lo, v43, v45
	v_add_co_ci_u32_e64 v48, null, 0, v44, vcc_lo
	v_add_nc_u32_e32 v49, 28, v11
	v_mul_lo_u32 v47, s10, v47
	v_add_co_u32 v50, vcc_lo, v45, s42
	v_add_co_ci_u32_e64 v51, null, s44, v48, vcc_lo
	v_add_nc_u32_e32 v52, 26, v11
	v_add_nc_u32_e32 v54, 22, v11
	v_mul_lo_u32 v49, s10, v49
	v_add_co_u32 v13, vcc_lo, v50, v13
	v_add_nc_u32_e32 v53, 24, v11
	v_add_co_ci_u32_e64 v65, null, v51, v46, vcc_lo
	v_mul_lo_u32 v46, s10, v52
	v_mul_lo_u32 v52, s10, v54
	v_ashrrev_i32_e32 v54, 31, v47
	v_add_co_u32 v78, vcc_lo, v45, v47
	v_mul_lo_u32 v51, s10, v53
	v_ashrrev_i32_e32 v55, 31, v49
	v_add_co_ci_u32_e64 v79, null, v48, v54, vcc_lo
	v_add_co_u32 v80, vcc_lo, v43, v47
	v_add_nc_u32_e32 v50, 20, v11
	v_add_co_ci_u32_e64 v81, null, v44, v54, vcc_lo
	v_add_co_u32 v82, vcc_lo, v45, v49
	v_ashrrev_i32_e32 v56, 31, v46
	v_add_co_ci_u32_e64 v83, null, v48, v55, vcc_lo
	v_add_co_u32 v84, vcc_lo, v43, v49
	v_add_nc_u32_e32 v53, 18, v11
	v_add_co_ci_u32_e64 v85, null, v44, v55, vcc_lo
	v_add_co_u32 v86, vcc_lo, v45, v46
	v_mul_lo_u32 v50, s10, v50
	v_ashrrev_i32_e32 v57, 31, v51
	v_add_co_ci_u32_e64 v87, null, v48, v56, vcc_lo
	v_add_co_u32 v88, vcc_lo, v43, v46
	v_add_nc_u32_e32 v58, 16, v11
	v_add_co_ci_u32_e64 v89, null, v44, v56, vcc_lo
	v_add_co_u32 v90, vcc_lo, v45, v51
	v_mul_lo_u32 v53, s10, v53
	v_ashrrev_i32_e32 v59, 31, v52
	v_add_co_ci_u32_e64 v91, null, v48, v57, vcc_lo
	v_add_co_u32 v92, vcc_lo, v43, v51
	v_add_nc_u32_e32 v60, 14, v11
	v_add_co_ci_u32_e64 v93, null, v44, v57, vcc_lo
	v_add_co_u32 v94, vcc_lo, v45, v52
	v_ashrrev_i32_e32 v61, 31, v50
	v_mul_lo_u32 v58, s10, v58
	v_add_co_ci_u32_e64 v95, null, v48, v59, vcc_lo
	v_add_co_u32 v96, vcc_lo, v43, v52
	v_add_nc_u32_e32 v62, 12, v11
	v_add_co_ci_u32_e64 v97, null, v44, v59, vcc_lo
	v_add_co_u32 v98, vcc_lo, v45, v50
	v_ashrrev_i32_e32 v63, 31, v53
	v_mul_lo_u32 v60, s10, v60
	v_add_co_ci_u32_e64 v99, null, v48, v61, vcc_lo
	v_add_co_u32 v100, vcc_lo, v43, v50
	v_add_nc_u32_e32 v64, 10, v11
	v_add_co_ci_u32_e64 v101, null, v44, v61, vcc_lo
	v_add_co_u32 v102, vcc_lo, v45, v53
	v_mul_lo_u32 v62, s10, v62
	v_ashrrev_i32_e32 v70, 31, v58
	v_add_co_ci_u32_e64 v103, null, v48, v63, vcc_lo
	v_add_co_u32 v104, vcc_lo, v43, v53
	v_add_nc_u32_e32 v66, 8, v11
	v_add_co_ci_u32_e64 v105, null, v44, v63, vcc_lo
	v_add_co_u32 v106, vcc_lo, v45, v58
	v_mul_lo_u32 v64, s10, v64
	v_ashrrev_i32_e32 v71, 31, v60
	v_add_co_ci_u32_e64 v107, null, v48, v70, vcc_lo
	v_add_co_u32 v108, vcc_lo, v43, v58
	v_add_nc_u32_e32 v67, 6, v11
	v_add_co_ci_u32_e64 v109, null, v44, v70, vcc_lo
	v_add_co_u32 v110, vcc_lo, v45, v60
	v_mul_lo_u32 v66, s10, v66
	v_ashrrev_i32_e32 v72, 31, v62
	v_add_co_ci_u32_e64 v111, null, v48, v71, vcc_lo
	v_add_co_u32 v112, vcc_lo, v43, v60
	v_add_nc_u32_e32 v68, 4, v11
	v_add_co_ci_u32_e64 v113, null, v44, v71, vcc_lo
	v_add_co_u32 v114, vcc_lo, v45, v62
	v_mul_lo_u32 v67, s10, v67
	v_ashrrev_i32_e32 v73, 31, v64
	v_add_co_ci_u32_e64 v115, null, v48, v72, vcc_lo
	v_add_co_u32 v116, vcc_lo, v43, v62
	v_add_nc_u32_e32 v69, 2, v11
	v_add_co_ci_u32_e64 v117, null, v44, v72, vcc_lo
	v_add_co_u32 v118, vcc_lo, v45, v64
	v_mul_lo_u32 v68, s10, v68
	v_ashrrev_i32_e32 v74, 31, v66
	v_add_co_ci_u32_e64 v119, null, v48, v73, vcc_lo
	v_add_co_u32 v120, vcc_lo, v43, v64
	v_add_co_ci_u32_e64 v121, null, v44, v73, vcc_lo
	v_add_co_u32 v122, vcc_lo, v45, v66
	v_mul_lo_u32 v69, s10, v69
	v_ashrrev_i32_e32 v75, 31, v67
	v_add_co_ci_u32_e64 v123, null, v48, v74, vcc_lo
	v_add_co_u32 v124, vcc_lo, v43, v66
	v_add_co_ci_u32_e64 v125, null, v44, v74, vcc_lo
	v_add_co_u32 v126, vcc_lo, v45, v67
	v_and_b32_e32 v46, 30, v37
	v_ashrrev_i32_e32 v76, 31, v68
	v_add_co_ci_u32_e64 v127, null, v48, v75, vcc_lo
	v_add_co_u32 v128, vcc_lo, v43, v67
	v_add_co_ci_u32_e64 v129, null, v44, v75, vcc_lo
	v_add_co_u32 v130, vcc_lo, v45, v68
	v_ashrrev_i32_e32 v77, 31, v69
	v_add_nc_u32_e32 v46, 2, v46
	v_xor_b32_e32 v47, 1, v37
	v_add_co_ci_u32_e64 v131, null, v48, v76, vcc_lo
	v_add_co_u32 v132, vcc_lo, v43, v68
	v_add_co_ci_u32_e64 v133, null, v44, v76, vcc_lo
	v_add_co_u32 v134, vcc_lo, v45, v69
	v_add_co_ci_u32_e64 v135, null, v48, v77, vcc_lo
	v_cmp_lt_i32_e32 vcc_lo, v47, v46
	v_mul_lo_u32 v60, v10, s12
	v_xor_b32_e32 v46, 8, v37
	s_mul_i32 s29, s8, s33
	s_mov_b32 s5, s3
	v_cndmask_b32_e32 v45, v37, v47, vcc_lo
	v_add_co_u32 v136, vcc_lo, v43, v69
	v_add_co_ci_u32_e64 v137, null, v44, v77, vcc_lo
	v_xor_b32_e32 v44, 2, v37
	v_lshlrev_b32_e32 v43, 2, v45
	v_xor_b32_e32 v45, 4, v37
	v_xor_b32_e32 v47, 16, v37
	v_add_nc_u32_e32 v52, s12, v60
	v_cmp_gt_i32_e32 vcc_lo, 32, v44
	v_add_co_u32 v54, s3, s29, v38
	v_add_co_ci_u32_e64 v55, null, s41, 0, s3
	v_cndmask_b32_e32 v44, v37, v44, vcc_lo
	v_cmp_gt_i32_e32 vcc_lo, 32, v45
	v_ashrrev_i32_e32 v53, 31, v52
	v_lshlrev_b32_e32 v48, 1, v12
	s_lshl_b64 s[8:9], s[4:5], 1
	s_add_u32 s3, s40, s29
	v_cndmask_b32_e32 v45, v37, v45, vcc_lo
	v_cmp_gt_i32_e32 vcc_lo, 32, v46
	s_addc_u32 s5, s48, s41
	v_lshlrev_b32_e32 v10, 1, v10
	v_lshlrev_b32_e32 v49, 1, v11
	v_ashrrev_i32_e32 v61, 31, v60
	v_cndmask_b32_e32 v46, v37, v46, vcc_lo
	v_cmp_gt_i32_e32 vcc_lo, 32, v47
	v_lshlrev_b32_e32 v44, 2, v44
	v_lshlrev_b32_e32 v45, 2, v45
	s_mul_i32 s28, s10, s2
	v_lshlrev_b32_e32 v46, 2, v46
	v_cndmask_b32_e32 v47, v37, v47, vcc_lo
	v_add_co_u32 v12, vcc_lo, v54, v52
	v_add_co_ci_u32_e64 v51, null, v55, v53, vcc_lo
	v_lshlrev_b32_e32 v47, 2, v47
	v_add_co_u32 v50, vcc_lo, s40, v12
	v_add_co_ci_u32_e64 v51, null, s48, v51, vcc_lo
	v_add_co_u32 v52, vcc_lo, s3, v52
	s_add_u32 s3, s47, s22
	v_add_co_ci_u32_e64 v53, null, s5, v53, vcc_lo
	s_addc_u32 s5, s43, s23
	v_add_co_u32 v11, vcc_lo, v54, s45
	s_add_u32 s3, s18, s3
	v_add_co_ci_u32_e64 v12, null, s46, v55, vcc_lo
	s_addc_u32 s5, s19, s5
	v_add_co_u32 v10, s3, s3, v10
	v_add_co_ci_u32_e64 v55, null, s5, 0, s3
	v_add_co_u32 v11, vcc_lo, v11, v60
	v_add_co_ci_u32_e64 v12, null, v12, v61, vcc_lo
	v_add_co_u32 v54, vcc_lo, v10, 2
	v_add_co_ci_u32_e64 v55, null, 0, v55, vcc_lo
	v_add_co_u32 v56, vcc_lo, s14, v11
	s_add_u32 s3, s29, s45
	s_addc_u32 s5, s41, s46
	v_add_co_ci_u32_e64 v57, null, s15, v12, vcc_lo
	v_add_co_u32 v58, vcc_lo, v30, 2
	s_add_u32 s3, s14, s3
	v_add_co_ci_u32_e64 v59, null, 0, v31, vcc_lo
	s_addc_u32 s5, s15, s5
	v_add_co_u32 v10, vcc_lo, s3, v60
	v_add_co_ci_u32_e64 v11, null, s5, v61, vcc_lo
	v_add_co_u32 v60, vcc_lo, s16, v39
	v_add_co_ci_u32_e64 v61, null, s17, v40, vcc_lo
	;; [unrolled: 2-line block ×3, first 2 shown]
	v_add_co_u32 v64, vcc_lo, s16, v13
	s_add_u32 s3, s16, s42
	v_add_co_ci_u32_e64 v65, null, s17, v65, vcc_lo
	s_addc_u32 s5, s17, s44
	v_add_co_u32 v66, vcc_lo, s3, v78
	v_add_co_ci_u32_e64 v67, null, s5, v79, vcc_lo
	v_add_co_u32 v68, vcc_lo, s3, v80
	v_add_co_ci_u32_e64 v69, null, s5, v81, vcc_lo
	;; [unrolled: 2-line block ×22, first 2 shown]
	v_add_co_u32 v110, vcc_lo, s3, v122
	ds_read_b128 v[10:13], v35
	v_add_co_ci_u32_e64 v111, null, s5, v123, vcc_lo
	v_add_co_u32 v112, vcc_lo, s3, v124
	v_add_co_ci_u32_e64 v113, null, s5, v125, vcc_lo
	v_add_co_u32 v114, vcc_lo, s3, v126
	;; [unrolled: 2-line block ×7, first 2 shown]
	v_add_co_ci_u32_e64 v125, null, s5, v137, vcc_lo
	v_mov_b32_e32 v39, 0
	v_or_b32_e32 v126, 8, v38
	v_or_b32_e32 v127, 16, v38
	;; [unrolled: 1-line block ×3, first 2 shown]
	v_mov_b32_e32 v132, 0xfeffffff
	v_mov_b32_e32 v129, 0x10001
	;; [unrolled: 1-line block ×5, first 2 shown]
	s_mul_i32 s3, s12, s2
	s_mul_i32 s5, s4, s12
	;; [unrolled: 1-line block ×3, first 2 shown]
.LBB9_27:                               ; =>This Inner Loop Header: Depth=1
	v_add_co_u32 v137, vcc_lo, v62, s3
	v_add_co_ci_u32_e64 v138, null, 0, v63, vcc_lo
	v_add_co_u32 v141, vcc_lo, v56, s3
	v_add_co_ci_u32_e64 v142, null, 0, v57, vcc_lo
	global_load_dwordx2 v[135:136], v[137:138], off offset:-28
	s_and_b32 vcc_lo, exec_lo, s35
	global_load_dword v139, v[141:142], off offset:8
	s_waitcnt vmcnt(1)
	v_ashrrev_i32_e32 v31, v38, v136
	s_waitcnt vmcnt(0)
	v_and_b32_e32 v30, 0xf0f0f0f, v139
	v_lshlrev_b32_e32 v133, 4, v31
	v_lshlrev_b32_e32 v134, 11, v31
	;; [unrolled: 1-line block ×4, first 2 shown]
	v_and_b32_e32 v133, 16, v133
	v_and_b32_e32 v134, 0x1000, v134
	;; [unrolled: 1-line block ×4, first 2 shown]
	v_or3_b32 v30, v31, v30, v140
	global_load_dword v140, v[141:142], off offset:16
	v_cvt_f32_f16_sdwa v31, v135 dst_sel:DWORD dst_unused:UNUSED_PAD src0_sel:WORD_1
	v_or3_b32 v30, v30, v133, v134
	v_cvt_f32_f16_e32 v133, v135
	v_ashrrev_i32_e32 v135, v126, v136
	v_lshlrev_b32_e32 v143, 4, v135
	v_lshlrev_b32_e32 v144, 11, v135
	;; [unrolled: 1-line block ×4, first 2 shown]
	v_and_b32_e32 v143, 16, v143
	v_and_b32_e32 v144, 0x1000, v144
	;; [unrolled: 1-line block ×4, first 2 shown]
	v_or3_b32 v135, v145, v135, v143
	s_waitcnt vmcnt(0)
	v_and_b32_e32 v134, 0xf0f0f0f, v140
	v_or3_b32 v134, v135, v144, v134
	v_lshrrev_b32_e32 v135, 4, v139
	v_ashrrev_i32_e32 v139, v127, v136
	v_ashrrev_i32_e32 v136, v128, v136
	v_and_b32_e32 v135, 0xf0f0f0f, v135
	v_lshlrev_b32_e32 v143, 4, v139
	v_lshlrev_b32_e32 v144, 11, v139
	;; [unrolled: 1-line block ×4, first 2 shown]
	v_and_b32_e32 v143, 16, v143
	v_and_b32_e32 v144, 0x1000, v144
	;; [unrolled: 1-line block ×4, first 2 shown]
	v_or3_b32 v135, v139, v135, v145
	v_lshrrev_b32_e32 v139, 4, v140
	v_lshlrev_b32_e32 v140, 4, v136
	global_load_dword v145, v[141:142], off offset:32
	v_or3_b32 v135, v135, v143, v144
	v_lshlrev_b32_e32 v143, 11, v136
	v_lshlrev_b32_e32 v144, 18, v136
	;; [unrolled: 1-line block ×3, first 2 shown]
	v_and_b32_e32 v140, 16, v140
	v_and_b32_e32 v139, 0xf0f0f0f, v139
	;; [unrolled: 1-line block ×5, first 2 shown]
	v_or3_b32 v136, v144, v136, v140
	v_or3_b32 v136, v136, v143, v139
	global_load_dwordx2 v[143:144], v[137:138], off offset:-4
	s_waitcnt vmcnt(1)
	v_and_b32_e32 v139, 0xf0f0f0f, v145
	s_waitcnt vmcnt(0)
	v_ashrrev_i32_e32 v137, v38, v144
	v_lshlrev_b32_e32 v138, 4, v137
	v_lshlrev_b32_e32 v140, 11, v137
	v_lshlrev_b32_e32 v146, 18, v137
	v_lshlrev_b32_e32 v137, 25, v137
	v_and_b32_e32 v138, 16, v138
	v_and_b32_e32 v140, 0x1000, v140
	;; [unrolled: 1-line block ×4, first 2 shown]
	v_or3_b32 v137, v137, v139, v146
	v_cvt_f32_f16_sdwa v139, v143 dst_sel:DWORD dst_unused:UNUSED_PAD src0_sel:WORD_1
	v_or3_b32 v138, v137, v138, v140
	global_load_dword v137, v[141:142], off offset:40
	v_ashrrev_i32_e32 v142, v126, v144
	v_cvt_f32_f16_e32 v140, v143
	v_lshlrev_b32_e32 v143, 4, v142
	v_lshlrev_b32_e32 v146, 11, v142
	;; [unrolled: 1-line block ×4, first 2 shown]
	v_and_b32_e32 v143, 16, v143
	v_and_b32_e32 v146, 0x1000, v146
	;; [unrolled: 1-line block ×4, first 2 shown]
	v_or3_b32 v142, v147, v142, v143
	v_ashrrev_i32_e32 v143, v127, v144
	v_lshlrev_b32_e32 v147, 18, v143
	v_and_b32_e32 v147, 0x100000, v147
	s_waitcnt vmcnt(0)
	v_and_b32_e32 v141, 0xf0f0f0f, v137
	v_lshrrev_b32_e32 v137, 4, v137
	v_or3_b32 v141, v142, v146, v141
	v_lshrrev_b32_e32 v142, 4, v145
	v_lshlrev_b32_e32 v145, 4, v143
	v_lshlrev_b32_e32 v146, 11, v143
	;; [unrolled: 1-line block ×3, first 2 shown]
	v_and_b32_e32 v137, 0xf0f0f0f, v137
	v_and_b32_e32 v142, 0xf0f0f0f, v142
	;; [unrolled: 1-line block ×5, first 2 shown]
	v_or3_b32 v142, v143, v142, v147
	v_ashrrev_i32_e32 v143, v128, v144
	v_or3_b32 v142, v142, v145, v146
	v_lshlrev_b32_e32 v144, 4, v143
	v_lshlrev_b32_e32 v145, 11, v143
	;; [unrolled: 1-line block ×4, first 2 shown]
	v_and_b32_e32 v144, 16, v144
	v_and_b32_e32 v145, 0x1000, v145
	;; [unrolled: 1-line block ×4, first 2 shown]
	v_or3_b32 v143, v146, v143, v144
	v_mov_b32_e32 v146, 0
	v_mul_f32_e32 v144, v2, v133
	v_or3_b32 v143, v143, v145, v137
	v_mov_b32_e32 v137, 0
	v_mul_f32_e32 v145, v3, v31
	v_dot4c_i32_i8 v146, v134, v15
	v_dot4c_i32_i8 v137, v30, v14
	v_mul_f32_e32 v145, 0x3e000000, v145
	v_cvt_f32_i32_e32 v146, v146
	v_cvt_f32_i32_e32 v137, v137
	v_fma_f32 v146, v144, v146, v145
	v_fma_f32 v137, v144, v137, v145
	v_add_f32_e32 v137, 0, v137
	v_add_f32_e32 v137, v137, v146
	v_mov_b32_e32 v146, 0
	v_dot4c_i32_i8 v146, v135, v16
	v_cvt_f32_i32_e32 v146, v146
	v_fma_f32 v146, v144, v146, v145
	v_add_f32_e32 v137, v146, v137
	v_mov_b32_e32 v146, 0
	v_dot4c_i32_i8 v146, v136, v17
	v_cvt_f32_i32_e32 v146, v146
	v_fmac_f32_e32 v145, v144, v146
	v_mov_b32_e32 v144, 0
	v_mul_f32_e32 v146, v5, v139
	v_add_f32_e32 v137, v137, v145
	v_dot4c_i32_i8 v144, v138, v18
	v_mul_f32_e32 v145, v4, v140
	v_mul_f32_e32 v146, 0x3e000000, v146
	v_cvt_f32_i32_e32 v144, v144
	v_fma_f32 v144, v145, v144, v146
	v_add_f32_e32 v137, v137, v144
	v_mov_b32_e32 v144, 0
	v_dot4c_i32_i8 v144, v141, v19
	v_cvt_f32_i32_e32 v144, v144
	v_fma_f32 v144, v145, v144, v146
	v_add_f32_e32 v137, v137, v144
	v_mov_b32_e32 v144, 0
	v_dot4c_i32_i8 v144, v142, v20
	;; [unrolled: 5-line block ×3, first 2 shown]
	v_cvt_f32_i32_e32 v144, v144
	v_fmac_f32_e32 v146, v145, v144
	v_add_f32_e32 v137, v137, v146
	ds_bpermute_b32 v144, v43, v137
	s_waitcnt lgkmcnt(0)
	v_add_f32_e32 v137, v137, v144
	s_cbranch_vccz .LBB9_29
; %bb.28:                               ;   in Loop: Header=BB9_27 Depth=1
	v_add_co_u32 v144, vcc_lo, v54, s11
	v_add_co_ci_u32_e64 v145, null, s13, v55, vcc_lo
	global_load_ushort v144, v[144:145], off offset:-2
	s_waitcnt vmcnt(0)
	v_fma_mix_f32 v137, v36, v144, v137 op_sel_hi:[0,1,0]
.LBB9_29:                               ;   in Loop: Header=BB9_27 Depth=1
	v_mov_b32_e32 v144, 0
	v_mul_f32_e32 v31, v7, v31
	v_mov_b32_e32 v145, 0
	v_mul_f32_e32 v133, v6, v133
	v_mov_b32_e32 v146, 0
	v_dot4c_i32_i8 v144, v30, v22
	v_mul_f32_e32 v31, 0x3e000000, v31
	v_dot4c_i32_i8 v145, v134, v23
	v_mov_b32_e32 v30, 0
	v_dot4c_i32_i8 v146, v135, v24
	v_cvt_f32_i32_e32 v134, v144
	v_mov_b32_e32 v147, 0
	v_cvt_f32_i32_e32 v135, v145
	v_dot4c_i32_i8 v30, v136, v25
	v_cvt_f32_i32_e32 v136, v146
	v_fma_f32 v134, v133, v134, v31
	v_mul_f32_e32 v139, v9, v139
	v_fma_f32 v135, v133, v135, v31
	v_mov_b32_e32 v144, 0
	v_dot4c_i32_i8 v147, v138, v26
	v_add_f32_e32 v134, 0, v134
	v_cvt_f32_i32_e32 v30, v30
	v_fma_f32 v136, v133, v136, v31
	v_mul_f32_e32 v140, v8, v140
	v_mov_b32_e32 v145, 0
	v_add_f32_e32 v134, v134, v135
	v_mul_f32_e32 v135, 0x3e000000, v139
	v_dot4c_i32_i8 v144, v141, v27
	v_cvt_f32_i32_e32 v138, v147
	v_fmac_f32_e32 v31, v133, v30
	v_add_f32_e32 v30, v136, v134
	v_dot4c_i32_i8 v145, v142, v28
	v_cvt_f32_i32_e32 v133, v144
	v_fma_f32 v134, v140, v138, v135
	s_andn2_b32 vcc_lo, exec_lo, s39
	v_add_f32_e32 v30, v30, v31
	v_mov_b32_e32 v31, 0
	v_cvt_f32_i32_e32 v136, v145
	v_fma_f32 v133, v140, v133, v135
	v_add_f32_e32 v30, v30, v134
	v_dot4c_i32_i8 v31, v143, v29
	v_fma_f32 v134, v140, v136, v135
	v_add_f32_e32 v30, v30, v133
	v_cvt_f32_i32_e32 v31, v31
	v_add_f32_e32 v30, v134, v30
	v_fmac_f32_e32 v135, v140, v31
	v_add_f32_e32 v30, v30, v135
	ds_bpermute_b32 v31, v43, v30
	s_waitcnt lgkmcnt(0)
	v_add_f32_e32 v30, v30, v31
	s_cbranch_vccnz .LBB9_31
; %bb.30:                               ;   in Loop: Header=BB9_27 Depth=1
	v_add_co_u32 v133, vcc_lo, v41, s11
	v_add_co_ci_u32_e64 v134, null, s13, v42, vcc_lo
	global_load_ushort v31, v[133:134], off
	s_waitcnt vmcnt(0)
	v_fma_mix_f32 v30, v36, v31, v30 op_sel_hi:[0,1,0]
.LBB9_31:                               ;   in Loop: Header=BB9_27 Depth=1
	v_add_co_u32 v139, vcc_lo, v52, s3
	v_add_co_ci_u32_e64 v140, null, 0, v53, vcc_lo
	v_add_co_u32 v142, vcc_lo, v50, s3
	v_add_co_ci_u32_e64 v143, null, 0, v51, vcc_lo
	global_load_dwordx2 v[144:145], v[139:140], off
	s_andn2_b32 vcc_lo, exec_lo, s35
	global_load_dword v136, v[142:143], off offset:8
	s_waitcnt vmcnt(1)
	v_ashrrev_i32_e32 v133, v38, v145
	v_ashrrev_i32_e32 v141, v126, v145
	s_waitcnt vmcnt(0)
	v_and_b32_e32 v31, 0xf0f0f0f, v136
	v_lshrrev_b32_e32 v136, 4, v136
	v_lshlrev_b32_e32 v134, 4, v133
	v_lshlrev_b32_e32 v135, 11, v133
	v_lshlrev_b32_e32 v138, 18, v133
	v_lshlrev_b32_e32 v133, 25, v133
	v_lshlrev_b32_e32 v146, 11, v141
	v_and_b32_e32 v134, 16, v134
	v_and_b32_e32 v135, 0x1000, v135
	;; [unrolled: 1-line block ×4, first 2 shown]
	v_lshlrev_b32_e32 v147, 18, v141
	v_and_b32_e32 v146, 0x1000, v146
	v_and_b32_e32 v136, 0xf0f0f0f, v136
	v_or3_b32 v31, v133, v31, v138
	global_load_dword v138, v[142:143], off offset:16
	v_cvt_f32_f16_sdwa v133, v144 dst_sel:DWORD dst_unused:UNUSED_PAD src0_sel:WORD_1
	v_and_b32_e32 v147, 0x100000, v147
	v_or3_b32 v31, v31, v134, v135
	v_cvt_f32_f16_e32 v134, v144
	v_lshlrev_b32_e32 v144, 4, v141
	v_lshlrev_b32_e32 v141, 25, v141
	v_and_b32_e32 v144, 16, v144
	v_and_b32_e32 v141, 0x10000000, v141
	v_or3_b32 v141, v147, v141, v144
	s_waitcnt vmcnt(0)
	v_and_b32_e32 v135, 0xf0f0f0f, v138
	v_lshrrev_b32_e32 v138, 4, v138
	v_or3_b32 v135, v141, v146, v135
	v_ashrrev_i32_e32 v141, v127, v145
	v_and_b32_e32 v138, 0xf0f0f0f, v138
	v_lshlrev_b32_e32 v144, 4, v141
	v_lshlrev_b32_e32 v146, 11, v141
	;; [unrolled: 1-line block ×4, first 2 shown]
	v_and_b32_e32 v144, 16, v144
	v_and_b32_e32 v146, 0x1000, v146
	;; [unrolled: 1-line block ×4, first 2 shown]
	v_or3_b32 v136, v141, v136, v147
	v_ashrrev_i32_e32 v141, v128, v145
	v_or3_b32 v136, v136, v144, v146
	v_lshlrev_b32_e32 v144, 4, v141
	v_lshlrev_b32_e32 v145, 11, v141
	;; [unrolled: 1-line block ×4, first 2 shown]
	v_and_b32_e32 v144, 16, v144
	v_and_b32_e32 v145, 0x1000, v145
	;; [unrolled: 1-line block ×4, first 2 shown]
	v_or3_b32 v141, v146, v141, v144
	global_load_dword v146, v[142:143], off offset:32
	v_or3_b32 v138, v141, v145, v138
	global_load_dwordx2 v[144:145], v[139:140], off offset:24
	s_waitcnt vmcnt(1)
	v_and_b32_e32 v141, 0xf0f0f0f, v146
	s_waitcnt vmcnt(0)
	v_ashrrev_i32_e32 v139, v38, v145
	v_lshlrev_b32_e32 v140, 4, v139
	v_lshlrev_b32_e32 v147, 11, v139
	;; [unrolled: 1-line block ×4, first 2 shown]
	v_and_b32_e32 v140, 16, v140
	v_and_b32_e32 v147, 0x1000, v147
	v_and_b32_e32 v148, 0x100000, v148
	v_and_b32_e32 v139, 0x10000000, v139
	v_or3_b32 v139, v139, v141, v148
	v_cvt_f32_f16_e32 v141, v144
	v_or3_b32 v139, v139, v140, v147
	v_cvt_f32_f16_sdwa v140, v144 dst_sel:DWORD dst_unused:UNUSED_PAD src0_sel:WORD_1
	global_load_dword v144, v[142:143], off offset:40
	v_ashrrev_i32_e32 v143, v126, v145
	v_lshlrev_b32_e32 v147, 4, v143
	v_lshlrev_b32_e32 v148, 11, v143
	;; [unrolled: 1-line block ×4, first 2 shown]
	v_and_b32_e32 v147, 16, v147
	v_and_b32_e32 v148, 0x1000, v148
	;; [unrolled: 1-line block ×4, first 2 shown]
	v_or3_b32 v143, v149, v143, v147
	s_waitcnt vmcnt(0)
	v_and_b32_e32 v142, 0xf0f0f0f, v144
	v_lshrrev_b32_e32 v144, 4, v144
	v_or3_b32 v142, v143, v148, v142
	v_lshrrev_b32_e32 v143, 4, v146
	v_ashrrev_i32_e32 v146, v127, v145
	v_ashrrev_i32_e32 v145, v128, v145
	v_and_b32_e32 v144, 0xf0f0f0f, v144
	v_and_b32_e32 v143, 0xf0f0f0f, v143
	v_lshlrev_b32_e32 v147, 4, v146
	v_lshlrev_b32_e32 v148, 11, v146
	;; [unrolled: 1-line block ×4, first 2 shown]
	v_and_b32_e32 v147, 16, v147
	v_and_b32_e32 v148, 0x1000, v148
	;; [unrolled: 1-line block ×4, first 2 shown]
	v_or3_b32 v143, v146, v143, v149
	v_lshlrev_b32_e32 v146, 4, v145
	v_or3_b32 v143, v143, v147, v148
	v_lshlrev_b32_e32 v147, 11, v145
	v_lshlrev_b32_e32 v148, 18, v145
	;; [unrolled: 1-line block ×3, first 2 shown]
	v_and_b32_e32 v146, 16, v146
	v_and_b32_e32 v147, 0x1000, v147
	;; [unrolled: 1-line block ×4, first 2 shown]
	v_or3_b32 v145, v148, v145, v146
	v_mov_b32_e32 v148, 0
	v_mul_f32_e32 v146, v2, v134
	v_or3_b32 v144, v145, v147, v144
	v_mov_b32_e32 v145, 0
	v_mul_f32_e32 v147, v3, v133
	v_dot4c_i32_i8 v148, v135, v15
	v_dot4c_i32_i8 v145, v31, v14
	v_mul_f32_e32 v147, 0x3e000000, v147
	v_cvt_f32_i32_e32 v148, v148
	v_cvt_f32_i32_e32 v145, v145
	v_fma_f32 v148, v146, v148, v147
	v_fma_f32 v145, v146, v145, v147
	v_add_f32_e32 v145, 0, v145
	v_add_f32_e32 v145, v145, v148
	v_mov_b32_e32 v148, 0
	v_dot4c_i32_i8 v148, v136, v16
	v_cvt_f32_i32_e32 v148, v148
	v_fma_f32 v148, v146, v148, v147
	v_add_f32_e32 v145, v148, v145
	v_mov_b32_e32 v148, 0
	v_dot4c_i32_i8 v148, v138, v17
	v_cvt_f32_i32_e32 v148, v148
	v_fmac_f32_e32 v147, v146, v148
	v_mov_b32_e32 v146, 0
	v_mul_f32_e32 v148, v5, v140
	v_add_f32_e32 v145, v145, v147
	v_dot4c_i32_i8 v146, v139, v18
	v_mul_f32_e32 v147, v4, v141
	v_mul_f32_e32 v148, 0x3e000000, v148
	v_cvt_f32_i32_e32 v146, v146
	v_fma_f32 v146, v147, v146, v148
	v_add_f32_e32 v145, v145, v146
	v_mov_b32_e32 v146, 0
	v_dot4c_i32_i8 v146, v142, v19
	v_cvt_f32_i32_e32 v146, v146
	v_fma_f32 v146, v147, v146, v148
	v_add_f32_e32 v145, v145, v146
	v_mov_b32_e32 v146, 0
	v_dot4c_i32_i8 v146, v143, v20
	;; [unrolled: 5-line block ×3, first 2 shown]
	v_cvt_f32_i32_e32 v146, v146
	v_fmac_f32_e32 v148, v147, v146
	v_add_f32_e32 v145, v145, v148
	ds_bpermute_b32 v146, v43, v145
	s_waitcnt lgkmcnt(0)
	v_add_f32_e32 v145, v145, v146
	s_cbranch_vccnz .LBB9_33
; %bb.32:                               ;   in Loop: Header=BB9_27 Depth=1
	v_add_co_u32 v146, vcc_lo, v54, s11
	v_add_co_ci_u32_e64 v147, null, s13, v55, vcc_lo
	global_load_ushort v146, v[146:147], off
	s_waitcnt vmcnt(0)
	v_fma_mix_f32 v145, v36, v146, v145 op_sel_hi:[0,1,0]
.LBB9_33:                               ;   in Loop: Header=BB9_27 Depth=1
	v_mov_b32_e32 v146, 0
	v_mul_f32_e32 v133, v7, v133
	v_mov_b32_e32 v147, 0
	v_mul_f32_e32 v134, v6, v134
	v_mov_b32_e32 v148, 0
	v_dot4c_i32_i8 v146, v31, v22
	v_mul_f32_e32 v133, 0x3e000000, v133
	v_dot4c_i32_i8 v147, v135, v23
	v_mov_b32_e32 v31, 0
	v_dot4c_i32_i8 v148, v136, v24
	v_cvt_f32_i32_e32 v135, v146
	v_mov_b32_e32 v149, 0
	v_cvt_f32_i32_e32 v136, v147
	v_dot4c_i32_i8 v31, v138, v25
	v_cvt_f32_i32_e32 v138, v148
	v_fma_f32 v135, v134, v135, v133
	v_mul_f32_e32 v140, v9, v140
	v_fma_f32 v136, v134, v136, v133
	v_mov_b32_e32 v146, 0
	v_dot4c_i32_i8 v149, v139, v26
	v_add_f32_e32 v135, 0, v135
	v_cvt_f32_i32_e32 v31, v31
	v_fma_f32 v138, v134, v138, v133
	v_mul_f32_e32 v141, v8, v141
	v_mov_b32_e32 v147, 0
	v_add_f32_e32 v135, v135, v136
	v_mul_f32_e32 v136, 0x3e000000, v140
	v_dot4c_i32_i8 v146, v142, v27
	v_cvt_f32_i32_e32 v139, v149
	v_fmac_f32_e32 v133, v134, v31
	v_add_f32_e32 v31, v138, v135
	v_dot4c_i32_i8 v147, v143, v28
	v_cvt_f32_i32_e32 v134, v146
	v_fma_f32 v135, v141, v139, v136
	s_andn2_b32 vcc_lo, exec_lo, s39
	v_add_f32_e32 v31, v31, v133
	v_mov_b32_e32 v133, 0
	v_cvt_f32_i32_e32 v138, v147
	v_fma_f32 v134, v141, v134, v136
	v_add_f32_e32 v31, v31, v135
	v_dot4c_i32_i8 v133, v144, v29
	v_fma_f32 v135, v141, v138, v136
	v_add_f32_e32 v31, v31, v134
	v_cvt_f32_i32_e32 v133, v133
	v_add_f32_e32 v31, v135, v31
	v_fmac_f32_e32 v136, v141, v133
	v_add_f32_e32 v31, v31, v136
	ds_bpermute_b32 v133, v43, v31
	s_waitcnt lgkmcnt(0)
	v_add_f32_e32 v31, v31, v133
	s_cbranch_vccnz .LBB9_35
; %bb.34:                               ;   in Loop: Header=BB9_27 Depth=1
	v_add_co_u32 v133, vcc_lo, v58, s11
	v_add_co_ci_u32_e64 v134, null, s13, v59, vcc_lo
	global_load_ushort v133, v[133:134], off
	s_waitcnt vmcnt(0)
	v_fma_mix_f32 v31, v36, v133, v31 op_sel_hi:[0,1,0]
.LBB9_35:                               ;   in Loop: Header=BB9_27 Depth=1
	v_add_f32_e32 v133, 0x40051340, v137
	v_add_f32_e32 v134, 0x40051340, v145
	;; [unrolled: 1-line block ×3, first 2 shown]
	v_cndmask_b32_e64 v130, v130, v137, s1
	s_add_i32 s2, s2, s4
	v_max3_f32 v133, v132, v133, v134
	v_add_f32_e32 v134, 0x40051340, v30
	s_cmp_ge_i32 s2, s31
	v_max3_f32 v134, v131, v134, v135
	v_cndmask_b32_e64 v135, v31, v30, s1
	ds_bpermute_b32 v30, v44, v133
	v_cndmask_b32_e64 v31, v145, v130, s1
	s_waitcnt lgkmcnt(0)
	v_max_f32_e32 v30, v30, v30
	v_max_f32_e32 v30, v133, v30
	ds_bpermute_b32 v130, v45, v30
	s_waitcnt lgkmcnt(0)
	v_max_f32_e32 v130, v130, v130
	v_max_f32_e32 v30, v30, v130
	ds_bpermute_b32 v130, v46, v30
	s_waitcnt lgkmcnt(0)
	v_max_f32_e32 v130, v130, v130
	v_max_f32_e32 v30, v30, v130
	ds_bpermute_b32 v130, v47, v30
	s_waitcnt lgkmcnt(0)
	v_max_f32_e32 v130, v130, v130
	v_max_f32_e32 v30, v30, v130
	v_sub_f32_e32 v130, v132, v30
	v_sub_f32_e32 v31, v31, v30
	v_mul_f32_e32 v132, 0x3fb8aa3b, v130
	v_cmp_ngt_f32_e32 vcc_lo, 0xc2ce8ed0, v130
	v_fma_f32 v133, 0x3fb8aa3b, v130, -v132
	v_rndne_f32_e32 v136, v132
	v_fmac_f32_e32 v133, 0x32a5705f, v130
	v_sub_f32_e32 v132, v132, v136
	v_add_f32_e32 v132, v132, v133
	v_cvt_i32_f32_e32 v133, v136
	v_exp_f32_e32 v132, v132
	v_ldexp_f32 v132, v132, v133
	v_cndmask_b32_e32 v132, 0, v132, vcc_lo
	v_cmp_nlt_f32_e32 vcc_lo, 0x42b17218, v130
	v_mul_f32_e32 v130, 0x3fb8aa3b, v31
	v_cndmask_b32_e32 v132, 0x7f800000, v132, vcc_lo
	v_fma_f32 v133, 0x3fb8aa3b, v31, -v130
	v_rndne_f32_e32 v136, v130
	v_cmp_ngt_f32_e32 vcc_lo, 0xc2ce8ed0, v31
	v_fmac_f32_e32 v133, 0x32a5705f, v31
	v_sub_f32_e32 v130, v130, v136
	v_add_f32_e32 v130, v130, v133
	v_cvt_i32_f32_e32 v133, v136
	v_exp_f32_e32 v130, v130
	v_ldexp_f32 v130, v130, v133
	v_cndmask_b32_e32 v130, 0, v130, vcc_lo
	v_cmp_nlt_f32_e32 vcc_lo, 0x42b17218, v31
	v_cndmask_b32_e32 v130, 0x7f800000, v130, vcc_lo
	v_cvt_f16_f32_e32 v31, v130
	v_fma_f32 v39, v39, v132, v130
	ds_write_b16 v33, v31
	v_cvt_f16_f32_e32 v31, v132
	v_mul_u32_u24_sdwa v31, v31, v129 dst_sel:DWORD dst_unused:UNUSED_PAD src0_sel:WORD_0 src1_sel:DWORD
	v_pk_mul_f16 v137, v10, v31
	ds_bpermute_b32 v10, v44, v134
	v_pk_mul_f16 v138, v11, v31
	s_waitcnt lgkmcnt(0)
	v_max_f32_e32 v10, v10, v10
	v_max_f32_e32 v10, v134, v10
	ds_bpermute_b32 v11, v45, v10
	s_waitcnt lgkmcnt(0)
	v_max_f32_e32 v11, v11, v11
	v_max_f32_e32 v10, v10, v11
	ds_bpermute_b32 v11, v46, v10
	;; [unrolled: 4-line block ×3, first 2 shown]
	s_waitcnt lgkmcnt(0)
	v_max_f32_e32 v11, v11, v11
	v_max_f32_e32 v31, v10, v11
	v_sub_f32_e32 v10, v131, v31
	v_mul_f32_e32 v11, 0x3fb8aa3b, v10
	v_cmp_ngt_f32_e32 vcc_lo, 0xc2ce8ed0, v10
	v_fma_f32 v131, 0x3fb8aa3b, v10, -v11
	v_rndne_f32_e32 v132, v11
	v_fmac_f32_e32 v131, 0x32a5705f, v10
	v_sub_f32_e32 v11, v11, v132
	v_add_f32_e32 v11, v11, v131
	v_cvt_i32_f32_e32 v131, v132
	v_exp_f32_e32 v11, v11
	v_ldexp_f32 v11, v11, v131
	v_cndmask_b32_e32 v11, 0, v11, vcc_lo
	v_cmp_nlt_f32_e32 vcc_lo, 0x42b17218, v10
	v_cndmask_b32_e32 v10, 0x7f800000, v11, vcc_lo
	v_sub_f32_e32 v11, v135, v31
	v_mul_f32_e32 v131, 0x3fb8aa3b, v11
	v_cmp_ngt_f32_e32 vcc_lo, 0xc2ce8ed0, v11
	v_fma_f32 v132, 0x3fb8aa3b, v11, -v131
	v_rndne_f32_e32 v133, v131
	v_fmac_f32_e32 v132, 0x32a5705f, v11
	v_sub_f32_e32 v131, v131, v133
	v_add_f32_e32 v131, v131, v132
	v_cvt_i32_f32_e32 v132, v133
	v_exp_f32_e32 v131, v131
	v_ldexp_f32 v131, v131, v132
	v_cndmask_b32_e32 v131, 0, v131, vcc_lo
	v_cmp_nlt_f32_e32 vcc_lo, 0x42b17218, v11
	v_cndmask_b32_e32 v11, 0x7f800000, v131, vcc_lo
	v_fma_f32 v40, v40, v10, v11
	v_cvt_f16_f32_e32 v10, v10
	v_cvt_f16_f32_e32 v11, v11
	v_mul_u32_u24_sdwa v10, v10, v129 dst_sel:DWORD dst_unused:UNUSED_PAD src0_sel:WORD_0 src1_sel:DWORD
	ds_write_b16 v33, v11 offset:256
	v_pk_mul_f16 v134, v12, v10
	v_pk_mul_f16 v13, v13, v10
	ds_read_u16 v11, v48
	ds_read_u16 v136, v48 offset:16
	ds_read_u16 v131, v48 offset:32
	;; [unrolled: 1-line block ×3, first 2 shown]
	s_waitcnt lgkmcnt(3)
	v_mul_u32_u24_e32 v135, 0x10001, v11
	ds_read_u16 v11, v48 offset:256
	s_waitcnt lgkmcnt(2)
	v_mul_u32_u24_e32 v131, 0x10001, v131
	s_waitcnt lgkmcnt(1)
	v_mul_u32_u24_e32 v10, 0x10001, v10
	;; [unrolled: 2-line block ×3, first 2 shown]
	v_add_co_u32 v11, vcc_lo, v60, s28
	v_add_co_ci_u32_e64 v12, null, 0, v61, vcc_lo
	v_add_co_u32 v132, vcc_lo, v64, s28
	v_add_co_ci_u32_e64 v133, null, 0, v65, vcc_lo
	global_load_ushort v11, v[11:12], off
	global_load_dword v12, v[132:133], off offset:2
	s_waitcnt vmcnt(1)
	v_mul_u32_u24_e32 v11, 0x10001, v11
	s_waitcnt vmcnt(0)
	v_pk_lshrrev_b16 v132, 8, v12 op_sel:[1,0] op_sel_hi:[0,0]
	v_pk_lshrrev_b16 v12, 8, v12 op_sel:[1,1] op_sel_hi:[0,1]
	v_lshrrev_b32_e32 v133, 16, v132
	v_cvt_f16_i16_sdwa v132, sext(v132) dst_sel:DWORD dst_unused:UNUSED_PAD src0_sel:BYTE_0
	v_cvt_f16_i16_sdwa v133, sext(v133) dst_sel:DWORD dst_unused:UNUSED_PAD src0_sel:BYTE_0
	v_pack_b32_f16 v132, v132, v133
	v_lshrrev_b32_e32 v133, 16, v12
	v_cvt_f16_i16_sdwa v12, sext(v12) dst_sel:DWORD dst_unused:UNUSED_PAD src0_sel:BYTE_0
	v_pk_mul_f16 v132, v132, v11
	v_cvt_f16_i16_sdwa v133, sext(v133) dst_sel:DWORD dst_unused:UNUSED_PAD src0_sel:BYTE_0
	v_pk_fma_f16 v141, v132, v135, v137
	v_pack_b32_f16 v12, v12, v133
	v_pk_fma_f16 v142, v132, v139, v134
	v_pk_mul_f16 v11, v12, v11
	v_pk_fma_f16 v143, v11, v135, v138
	v_pk_fma_f16 v144, v11, v139, v13
	ds_read_u16 v137, v49 offset:4
	ds_read_u16 v145, v49 offset:8
	;; [unrolled: 1-line block ×12, first 2 shown]
	s_waitcnt lgkmcnt(11)
	v_mul_u32_u24_e32 v149, 0x10001, v137
	ds_read_u16 v137, v49 offset:260
	s_waitcnt lgkmcnt(11)
	v_mul_u32_u24_e32 v145, 0x10001, v145
	s_waitcnt lgkmcnt(3)
	v_mul_u32_u24_e32 v13, 0x10001, v13
	;; [unrolled: 2-line block ×4, first 2 shown]
	v_add_co_u32 v137, vcc_lo, v124, s28
	v_add_co_ci_u32_e64 v138, null, 0, v125, vcc_lo
	v_add_co_u32 v139, vcc_lo, v122, s28
	v_add_co_ci_u32_e64 v140, null, 0, v123, vcc_lo
	global_load_ushort v137, v[137:138], off
	global_load_dword v138, v[139:140], off offset:2
	s_waitcnt vmcnt(1)
	v_mul_u32_u24_e32 v137, 0x10001, v137
	s_waitcnt vmcnt(0)
	v_pk_lshrrev_b16 v139, 8, v138 op_sel:[1,0] op_sel_hi:[0,0]
	v_pk_lshrrev_b16 v138, 8, v138 op_sel:[1,1] op_sel_hi:[0,1]
	v_lshrrev_b32_e32 v140, 16, v139
	v_cvt_f16_i16_sdwa v139, sext(v139) dst_sel:DWORD dst_unused:UNUSED_PAD src0_sel:BYTE_0
	v_cvt_f16_i16_sdwa v140, sext(v140) dst_sel:DWORD dst_unused:UNUSED_PAD src0_sel:BYTE_0
	v_pack_b32_f16 v139, v139, v140
	v_lshrrev_b32_e32 v140, 16, v138
	v_cvt_f16_i16_sdwa v138, sext(v138) dst_sel:DWORD dst_unused:UNUSED_PAD src0_sel:BYTE_0
	v_pk_mul_f16 v139, v139, v137
	v_cvt_f16_i16_sdwa v140, sext(v140) dst_sel:DWORD dst_unused:UNUSED_PAD src0_sel:BYTE_0
	v_pk_fma_f16 v141, v139, v149, v141
	v_pack_b32_f16 v138, v138, v140
	v_pk_fma_f16 v142, v139, v150, v142
	v_pk_mul_f16 v137, v138, v137
	v_pk_fma_f16 v143, v137, v149, v143
	v_pk_fma_f16 v144, v137, v150, v144
	ds_read_u16 v137, v49 offset:264
	s_waitcnt lgkmcnt(0)
	v_mul_u32_u24_e32 v149, 0x10001, v137
	v_add_co_u32 v137, vcc_lo, v120, s28
	v_add_co_ci_u32_e64 v138, null, 0, v121, vcc_lo
	v_add_co_u32 v139, vcc_lo, v118, s28
	v_add_co_ci_u32_e64 v140, null, 0, v119, vcc_lo
	global_load_ushort v137, v[137:138], off
	global_load_dword v138, v[139:140], off offset:2
	s_waitcnt vmcnt(1)
	v_mul_u32_u24_e32 v137, 0x10001, v137
	s_waitcnt vmcnt(0)
	v_pk_lshrrev_b16 v139, 8, v138 op_sel:[1,0] op_sel_hi:[0,0]
	v_pk_lshrrev_b16 v138, 8, v138 op_sel:[1,1] op_sel_hi:[0,1]
	v_lshrrev_b32_e32 v140, 16, v139
	v_cvt_f16_i16_sdwa v139, sext(v139) dst_sel:DWORD dst_unused:UNUSED_PAD src0_sel:BYTE_0
	v_cvt_f16_i16_sdwa v140, sext(v140) dst_sel:DWORD dst_unused:UNUSED_PAD src0_sel:BYTE_0
	v_pack_b32_f16 v139, v139, v140
	v_lshrrev_b32_e32 v140, 16, v138
	v_cvt_f16_i16_sdwa v138, sext(v138) dst_sel:DWORD dst_unused:UNUSED_PAD src0_sel:BYTE_0
	v_pk_mul_f16 v139, v139, v137
	v_cvt_f16_i16_sdwa v140, sext(v140) dst_sel:DWORD dst_unused:UNUSED_PAD src0_sel:BYTE_0
	v_pk_fma_f16 v141, v139, v145, v141
	v_pack_b32_f16 v138, v138, v140
	v_pk_fma_f16 v142, v139, v149, v142
	v_pk_mul_f16 v137, v138, v137
	v_pk_fma_f16 v143, v137, v145, v143
	v_pk_fma_f16 v144, v137, v149, v144
	ds_read_u16 v137, v49 offset:268
	v_mul_u32_u24_e32 v145, 0x10001, v146
	s_waitcnt lgkmcnt(0)
	v_mul_u32_u24_e32 v146, 0x10001, v137
	v_add_co_u32 v137, vcc_lo, v116, s28
	v_add_co_ci_u32_e64 v138, null, 0, v117, vcc_lo
	v_add_co_u32 v139, vcc_lo, v114, s28
	v_add_co_ci_u32_e64 v140, null, 0, v115, vcc_lo
	global_load_ushort v137, v[137:138], off
	global_load_dword v138, v[139:140], off offset:2
	s_waitcnt vmcnt(1)
	v_mul_u32_u24_e32 v137, 0x10001, v137
	s_waitcnt vmcnt(0)
	v_pk_lshrrev_b16 v139, 8, v138 op_sel:[1,0] op_sel_hi:[0,0]
	v_pk_lshrrev_b16 v138, 8, v138 op_sel:[1,1] op_sel_hi:[0,1]
	v_lshrrev_b32_e32 v140, 16, v139
	v_cvt_f16_i16_sdwa v139, sext(v139) dst_sel:DWORD dst_unused:UNUSED_PAD src0_sel:BYTE_0
	v_cvt_f16_i16_sdwa v140, sext(v140) dst_sel:DWORD dst_unused:UNUSED_PAD src0_sel:BYTE_0
	v_pack_b32_f16 v139, v139, v140
	v_lshrrev_b32_e32 v140, 16, v138
	v_cvt_f16_i16_sdwa v138, sext(v138) dst_sel:DWORD dst_unused:UNUSED_PAD src0_sel:BYTE_0
	v_pk_mul_f16 v139, v139, v137
	v_cvt_f16_i16_sdwa v140, sext(v140) dst_sel:DWORD dst_unused:UNUSED_PAD src0_sel:BYTE_0
	v_pack_b32_f16 v138, v138, v140
	v_pk_fma_f16 v140, v139, v145, v141
	v_pk_fma_f16 v141, v139, v146, v142
	v_pk_mul_f16 v137, v138, v137
	v_pk_fma_f16 v142, v137, v145, v143
	v_pk_fma_f16 v143, v137, v146, v144
	v_mul_u32_u24_e32 v144, 0x10001, v136
	ds_read_u16 v136, v48 offset:272
	s_waitcnt lgkmcnt(0)
	v_mul_u32_u24_e32 v145, 0x10001, v136
	v_add_co_u32 v136, vcc_lo, v112, s28
	v_add_co_ci_u32_e64 v137, null, 0, v113, vcc_lo
	v_add_co_u32 v138, vcc_lo, v110, s28
	v_add_co_ci_u32_e64 v139, null, 0, v111, vcc_lo
	global_load_ushort v136, v[136:137], off
	global_load_dword v137, v[138:139], off offset:2
	s_waitcnt vmcnt(1)
	v_mul_u32_u24_e32 v136, 0x10001, v136
	s_waitcnt vmcnt(0)
	v_pk_lshrrev_b16 v138, 8, v137 op_sel:[1,0] op_sel_hi:[0,0]
	v_pk_lshrrev_b16 v137, 8, v137 op_sel:[1,1] op_sel_hi:[0,1]
	v_lshrrev_b32_e32 v139, 16, v138
	v_cvt_f16_i16_sdwa v138, sext(v138) dst_sel:DWORD dst_unused:UNUSED_PAD src0_sel:BYTE_0
	v_cvt_f16_i16_sdwa v139, sext(v139) dst_sel:DWORD dst_unused:UNUSED_PAD src0_sel:BYTE_0
	v_pack_b32_f16 v138, v138, v139
	v_lshrrev_b32_e32 v139, 16, v137
	v_cvt_f16_i16_sdwa v137, sext(v137) dst_sel:DWORD dst_unused:UNUSED_PAD src0_sel:BYTE_0
	v_pk_mul_f16 v138, v138, v136
	v_cvt_f16_i16_sdwa v139, sext(v139) dst_sel:DWORD dst_unused:UNUSED_PAD src0_sel:BYTE_0
	v_pk_fma_f16 v141, v138, v145, v141
	v_pack_b32_f16 v137, v137, v139
	v_pk_fma_f16 v140, v138, v144, v140
	v_pk_mul_f16 v136, v137, v136
	v_pk_fma_f16 v142, v136, v144, v142
	v_pk_fma_f16 v143, v136, v145, v143
	ds_read_u16 v136, v49 offset:276
	v_mul_u32_u24_e32 v144, 0x10001, v147
	s_waitcnt lgkmcnt(0)
	v_mul_u32_u24_e32 v145, 0x10001, v136
	v_add_co_u32 v136, vcc_lo, v108, s28
	v_add_co_ci_u32_e64 v137, null, 0, v109, vcc_lo
	v_add_co_u32 v138, vcc_lo, v106, s28
	v_add_co_ci_u32_e64 v139, null, 0, v107, vcc_lo
	global_load_ushort v136, v[136:137], off
	global_load_dword v137, v[138:139], off offset:2
	s_waitcnt vmcnt(1)
	v_mul_u32_u24_e32 v136, 0x10001, v136
	s_waitcnt vmcnt(0)
	v_pk_lshrrev_b16 v138, 8, v137 op_sel:[1,0] op_sel_hi:[0,0]
	v_pk_lshrrev_b16 v137, 8, v137 op_sel:[1,1] op_sel_hi:[0,1]
	v_lshrrev_b32_e32 v139, 16, v138
	v_cvt_f16_i16_sdwa v138, sext(v138) dst_sel:DWORD dst_unused:UNUSED_PAD src0_sel:BYTE_0
	v_cvt_f16_i16_sdwa v139, sext(v139) dst_sel:DWORD dst_unused:UNUSED_PAD src0_sel:BYTE_0
	v_pack_b32_f16 v138, v138, v139
	v_lshrrev_b32_e32 v139, 16, v137
	v_cvt_f16_i16_sdwa v137, sext(v137) dst_sel:DWORD dst_unused:UNUSED_PAD src0_sel:BYTE_0
	v_pk_mul_f16 v138, v138, v136
	v_cvt_f16_i16_sdwa v139, sext(v139) dst_sel:DWORD dst_unused:UNUSED_PAD src0_sel:BYTE_0
	v_pk_fma_f16 v141, v138, v145, v141
	v_pack_b32_f16 v137, v137, v139
	v_pk_fma_f16 v140, v138, v144, v140
	v_pk_mul_f16 v136, v137, v136
	v_pk_fma_f16 v142, v136, v144, v142
	v_pk_fma_f16 v143, v136, v145, v143
	ds_read_u16 v136, v49 offset:280
	v_mul_u32_u24_e32 v144, 0x10001, v148
	s_waitcnt lgkmcnt(0)
	v_mul_u32_u24_e32 v145, 0x10001, v136
	v_add_co_u32 v136, vcc_lo, v104, s28
	v_add_co_ci_u32_e64 v137, null, 0, v105, vcc_lo
	v_add_co_u32 v138, vcc_lo, v102, s28
	v_add_co_ci_u32_e64 v139, null, 0, v103, vcc_lo
	global_load_ushort v136, v[136:137], off
	global_load_dword v137, v[138:139], off offset:2
	s_waitcnt vmcnt(1)
	v_mul_u32_u24_e32 v136, 0x10001, v136
	s_waitcnt vmcnt(0)
	v_pk_lshrrev_b16 v138, 8, v137 op_sel:[1,0] op_sel_hi:[0,0]
	v_pk_lshrrev_b16 v137, 8, v137 op_sel:[1,1] op_sel_hi:[0,1]
	v_lshrrev_b32_e32 v139, 16, v138
	v_cvt_f16_i16_sdwa v138, sext(v138) dst_sel:DWORD dst_unused:UNUSED_PAD src0_sel:BYTE_0
	v_cvt_f16_i16_sdwa v139, sext(v139) dst_sel:DWORD dst_unused:UNUSED_PAD src0_sel:BYTE_0
	v_pack_b32_f16 v138, v138, v139
	v_lshrrev_b32_e32 v139, 16, v137
	v_cvt_f16_i16_sdwa v137, sext(v137) dst_sel:DWORD dst_unused:UNUSED_PAD src0_sel:BYTE_0
	v_pk_mul_f16 v138, v138, v136
	v_cvt_f16_i16_sdwa v139, sext(v139) dst_sel:DWORD dst_unused:UNUSED_PAD src0_sel:BYTE_0
	v_pack_b32_f16 v137, v137, v139
	v_pk_fma_f16 v139, v138, v144, v140
	v_pk_fma_f16 v140, v138, v145, v141
	v_pk_mul_f16 v136, v137, v136
	v_pk_fma_f16 v141, v136, v144, v142
	v_pk_fma_f16 v142, v136, v145, v143
	v_mul_u32_u24_e32 v143, 0x10001, v135
	ds_read_u16 v135, v49 offset:284
	s_waitcnt lgkmcnt(0)
	v_mul_u32_u24_e32 v144, 0x10001, v135
	v_add_co_u32 v135, vcc_lo, v100, s28
	v_add_co_ci_u32_e64 v136, null, 0, v101, vcc_lo
	v_add_co_u32 v137, vcc_lo, v98, s28
	v_add_co_ci_u32_e64 v138, null, 0, v99, vcc_lo
	global_load_ushort v135, v[135:136], off
	global_load_dword v136, v[137:138], off offset:2
	s_waitcnt vmcnt(1)
	v_mul_u32_u24_e32 v135, 0x10001, v135
	s_waitcnt vmcnt(0)
	v_pk_lshrrev_b16 v137, 8, v136 op_sel:[1,0] op_sel_hi:[0,0]
	v_pk_lshrrev_b16 v136, 8, v136 op_sel:[1,1] op_sel_hi:[0,1]
	v_lshrrev_b32_e32 v138, 16, v137
	v_cvt_f16_i16_sdwa v137, sext(v137) dst_sel:DWORD dst_unused:UNUSED_PAD src0_sel:BYTE_0
	v_cvt_f16_i16_sdwa v138, sext(v138) dst_sel:DWORD dst_unused:UNUSED_PAD src0_sel:BYTE_0
	v_pack_b32_f16 v137, v137, v138
	v_lshrrev_b32_e32 v138, 16, v136
	v_cvt_f16_i16_sdwa v136, sext(v136) dst_sel:DWORD dst_unused:UNUSED_PAD src0_sel:BYTE_0
	v_pk_mul_f16 v137, v137, v135
	v_cvt_f16_i16_sdwa v138, sext(v138) dst_sel:DWORD dst_unused:UNUSED_PAD src0_sel:BYTE_0
	v_pk_fma_f16 v139, v137, v143, v139
	v_pack_b32_f16 v136, v136, v138
	v_pk_fma_f16 v140, v137, v144, v140
	v_pk_mul_f16 v135, v136, v135
	v_pk_fma_f16 v141, v135, v143, v141
	v_pk_fma_f16 v142, v135, v144, v142
	ds_read_u16 v135, v48 offset:288
	s_waitcnt lgkmcnt(0)
	v_mul_u32_u24_e32 v143, 0x10001, v135
	v_add_co_u32 v135, vcc_lo, v96, s28
	v_add_co_ci_u32_e64 v136, null, 0, v97, vcc_lo
	v_add_co_u32 v137, vcc_lo, v94, s28
	v_add_co_ci_u32_e64 v138, null, 0, v95, vcc_lo
	global_load_ushort v135, v[135:136], off
	global_load_dword v136, v[137:138], off offset:2
	s_waitcnt vmcnt(1)
	v_mul_u32_u24_e32 v135, 0x10001, v135
	s_waitcnt vmcnt(0)
	v_pk_lshrrev_b16 v137, 8, v136 op_sel:[1,0] op_sel_hi:[0,0]
	v_pk_lshrrev_b16 v136, 8, v136 op_sel:[1,1] op_sel_hi:[0,1]
	v_lshrrev_b32_e32 v138, 16, v137
	v_cvt_f16_i16_sdwa v137, sext(v137) dst_sel:DWORD dst_unused:UNUSED_PAD src0_sel:BYTE_0
	v_cvt_f16_i16_sdwa v138, sext(v138) dst_sel:DWORD dst_unused:UNUSED_PAD src0_sel:BYTE_0
	v_pack_b32_f16 v137, v137, v138
	v_lshrrev_b32_e32 v138, 16, v136
	v_cvt_f16_i16_sdwa v136, sext(v136) dst_sel:DWORD dst_unused:UNUSED_PAD src0_sel:BYTE_0
	v_pk_mul_f16 v137, v137, v135
	v_cvt_f16_i16_sdwa v138, sext(v138) dst_sel:DWORD dst_unused:UNUSED_PAD src0_sel:BYTE_0
	v_pack_b32_f16 v136, v136, v138
	v_pk_fma_f16 v138, v137, v131, v139
	v_pk_fma_f16 v139, v137, v143, v140
	v_pk_mul_f16 v135, v136, v135
	v_pk_fma_f16 v131, v135, v131, v141
	v_mul_u32_u24_e32 v141, 0x10001, v134
	ds_read_u16 v134, v49 offset:292
	v_pk_fma_f16 v140, v135, v143, v142
	s_waitcnt lgkmcnt(0)
	v_mul_u32_u24_e32 v142, 0x10001, v134
	v_add_co_u32 v134, vcc_lo, v92, s28
	v_add_co_ci_u32_e64 v135, null, 0, v93, vcc_lo
	v_add_co_u32 v136, vcc_lo, v90, s28
	v_add_co_ci_u32_e64 v137, null, 0, v91, vcc_lo
	global_load_ushort v134, v[134:135], off
	global_load_dword v135, v[136:137], off offset:2
	s_waitcnt vmcnt(1)
	v_mul_u32_u24_e32 v134, 0x10001, v134
	s_waitcnt vmcnt(0)
	v_pk_lshrrev_b16 v136, 8, v135 op_sel:[1,0] op_sel_hi:[0,0]
	v_pk_lshrrev_b16 v135, 8, v135 op_sel:[1,1] op_sel_hi:[0,1]
	v_lshrrev_b32_e32 v137, 16, v136
	v_cvt_f16_i16_sdwa v136, sext(v136) dst_sel:DWORD dst_unused:UNUSED_PAD src0_sel:BYTE_0
	v_cvt_f16_i16_sdwa v137, sext(v137) dst_sel:DWORD dst_unused:UNUSED_PAD src0_sel:BYTE_0
	v_pack_b32_f16 v136, v136, v137
	v_lshrrev_b32_e32 v137, 16, v135
	v_cvt_f16_i16_sdwa v135, sext(v135) dst_sel:DWORD dst_unused:UNUSED_PAD src0_sel:BYTE_0
	v_pk_mul_f16 v136, v136, v134
	v_cvt_f16_i16_sdwa v137, sext(v137) dst_sel:DWORD dst_unused:UNUSED_PAD src0_sel:BYTE_0
	v_pack_b32_f16 v135, v135, v137
	v_pk_fma_f16 v137, v136, v141, v138
	v_pk_fma_f16 v138, v136, v142, v139
	v_pk_mul_f16 v134, v135, v134
	v_pk_fma_f16 v139, v134, v142, v140
	v_mul_u32_u24_e32 v140, 0x10001, v133
	ds_read_u16 v133, v49 offset:296
	v_pk_fma_f16 v131, v134, v141, v131
	s_waitcnt lgkmcnt(0)
	v_mul_u32_u24_e32 v141, 0x10001, v133
	v_add_co_u32 v133, vcc_lo, v88, s28
	v_add_co_ci_u32_e64 v134, null, 0, v89, vcc_lo
	v_add_co_u32 v135, vcc_lo, v86, s28
	v_add_co_ci_u32_e64 v136, null, 0, v87, vcc_lo
	global_load_ushort v133, v[133:134], off
	global_load_dword v134, v[135:136], off offset:2
	s_waitcnt vmcnt(1)
	v_mul_u32_u24_e32 v133, 0x10001, v133
	s_waitcnt vmcnt(0)
	v_pk_lshrrev_b16 v135, 8, v134 op_sel:[1,0] op_sel_hi:[0,0]
	v_pk_lshrrev_b16 v134, 8, v134 op_sel:[1,1] op_sel_hi:[0,1]
	v_lshrrev_b32_e32 v136, 16, v135
	v_cvt_f16_i16_sdwa v135, sext(v135) dst_sel:DWORD dst_unused:UNUSED_PAD src0_sel:BYTE_0
	v_cvt_f16_i16_sdwa v136, sext(v136) dst_sel:DWORD dst_unused:UNUSED_PAD src0_sel:BYTE_0
	v_pack_b32_f16 v135, v135, v136
	v_lshrrev_b32_e32 v136, 16, v134
	v_cvt_f16_i16_sdwa v134, sext(v134) dst_sel:DWORD dst_unused:UNUSED_PAD src0_sel:BYTE_0
	v_pk_mul_f16 v135, v135, v133
	v_cvt_f16_i16_sdwa v136, sext(v136) dst_sel:DWORD dst_unused:UNUSED_PAD src0_sel:BYTE_0
	v_pack_b32_f16 v134, v134, v136
	v_pk_fma_f16 v136, v135, v140, v137
	v_pk_fma_f16 v135, v135, v141, v138
	v_pk_mul_f16 v133, v134, v133
	v_pk_fma_f16 v137, v133, v140, v131
	ds_read_u16 v131, v49 offset:300
	v_pk_fma_f16 v138, v133, v141, v139
	v_mul_u32_u24_e32 v139, 0x10001, v132
	s_waitcnt lgkmcnt(0)
	v_mul_u32_u24_e32 v140, 0x10001, v131
	v_add_co_u32 v131, vcc_lo, v84, s28
	v_add_co_ci_u32_e64 v132, null, 0, v85, vcc_lo
	v_add_co_u32 v133, vcc_lo, v82, s28
	v_add_co_ci_u32_e64 v134, null, 0, v83, vcc_lo
	global_load_ushort v131, v[131:132], off
	global_load_dword v132, v[133:134], off offset:2
	s_waitcnt vmcnt(1)
	v_mul_u32_u24_e32 v131, 0x10001, v131
	s_waitcnt vmcnt(0)
	v_pk_lshrrev_b16 v133, 8, v132 op_sel:[1,0] op_sel_hi:[0,0]
	v_pk_lshrrev_b16 v132, 8, v132 op_sel:[1,1] op_sel_hi:[0,1]
	v_lshrrev_b32_e32 v134, 16, v133
	v_cvt_f16_i16_sdwa v133, sext(v133) dst_sel:DWORD dst_unused:UNUSED_PAD src0_sel:BYTE_0
	v_cvt_f16_i16_sdwa v134, sext(v134) dst_sel:DWORD dst_unused:UNUSED_PAD src0_sel:BYTE_0
	v_pack_b32_f16 v133, v133, v134
	v_lshrrev_b32_e32 v134, 16, v132
	v_cvt_f16_i16_sdwa v132, sext(v132) dst_sel:DWORD dst_unused:UNUSED_PAD src0_sel:BYTE_0
	v_pk_mul_f16 v133, v133, v131
	v_cvt_f16_i16_sdwa v134, sext(v134) dst_sel:DWORD dst_unused:UNUSED_PAD src0_sel:BYTE_0
	v_pk_fma_f16 v136, v133, v139, v136
	v_pack_b32_f16 v132, v132, v134
	v_pk_fma_f16 v135, v133, v140, v135
	v_pk_mul_f16 v131, v132, v131
	v_pk_fma_f16 v137, v131, v139, v137
	v_pk_fma_f16 v138, v131, v140, v138
	ds_read_u16 v131, v48 offset:304
	s_waitcnt lgkmcnt(0)
	v_mul_u32_u24_e32 v139, 0x10001, v131
	v_add_co_u32 v131, vcc_lo, v80, s28
	v_add_co_ci_u32_e64 v132, null, 0, v81, vcc_lo
	v_add_co_u32 v133, vcc_lo, v78, s28
	v_add_co_ci_u32_e64 v134, null, 0, v79, vcc_lo
	global_load_ushort v131, v[131:132], off
	global_load_dword v132, v[133:134], off offset:2
	s_waitcnt vmcnt(1)
	v_mul_u32_u24_e32 v131, 0x10001, v131
	s_waitcnt vmcnt(0)
	v_pk_lshrrev_b16 v133, 8, v132 op_sel:[1,0] op_sel_hi:[0,0]
	v_pk_lshrrev_b16 v132, 8, v132 op_sel:[1,1] op_sel_hi:[0,1]
	v_lshrrev_b32_e32 v134, 16, v133
	v_cvt_f16_i16_sdwa v133, sext(v133) dst_sel:DWORD dst_unused:UNUSED_PAD src0_sel:BYTE_0
	v_cvt_f16_i16_sdwa v134, sext(v134) dst_sel:DWORD dst_unused:UNUSED_PAD src0_sel:BYTE_0
	v_pack_b32_f16 v133, v133, v134
	v_lshrrev_b32_e32 v134, 16, v132
	v_cvt_f16_i16_sdwa v132, sext(v132) dst_sel:DWORD dst_unused:UNUSED_PAD src0_sel:BYTE_0
	v_pk_mul_f16 v133, v133, v131
	v_cvt_f16_i16_sdwa v134, sext(v134) dst_sel:DWORD dst_unused:UNUSED_PAD src0_sel:BYTE_0
	v_pk_fma_f16 v136, v133, v10, v136
	v_pack_b32_f16 v132, v132, v134
	v_pk_fma_f16 v135, v133, v139, v135
	v_pk_mul_f16 v131, v132, v131
	v_pk_fma_f16 v10, v131, v10, v137
	v_pk_fma_f16 v137, v131, v139, v138
	ds_read_u16 v131, v49 offset:308
	s_waitcnt lgkmcnt(0)
	v_mul_u32_u24_e32 v138, 0x10001, v131
	v_add_co_u32 v131, vcc_lo, v76, s28
	v_add_co_ci_u32_e64 v132, null, 0, v77, vcc_lo
	v_add_co_u32 v133, vcc_lo, v74, s28
	v_add_co_ci_u32_e64 v134, null, 0, v75, vcc_lo
	global_load_ushort v131, v[131:132], off
	global_load_dword v132, v[133:134], off offset:2
	s_waitcnt vmcnt(1)
	v_mul_u32_u24_e32 v131, 0x10001, v131
	s_waitcnt vmcnt(0)
	v_pk_lshrrev_b16 v133, 8, v132 op_sel:[1,0] op_sel_hi:[0,0]
	v_pk_lshrrev_b16 v132, 8, v132 op_sel:[1,1] op_sel_hi:[0,1]
	v_lshrrev_b32_e32 v134, 16, v133
	v_cvt_f16_i16_sdwa v133, sext(v133) dst_sel:DWORD dst_unused:UNUSED_PAD src0_sel:BYTE_0
	v_cvt_f16_i16_sdwa v134, sext(v134) dst_sel:DWORD dst_unused:UNUSED_PAD src0_sel:BYTE_0
	v_pack_b32_f16 v133, v133, v134
	v_lshrrev_b32_e32 v134, 16, v132
	v_cvt_f16_i16_sdwa v132, sext(v132) dst_sel:DWORD dst_unused:UNUSED_PAD src0_sel:BYTE_0
	v_pk_mul_f16 v133, v133, v131
	v_cvt_f16_i16_sdwa v134, sext(v134) dst_sel:DWORD dst_unused:UNUSED_PAD src0_sel:BYTE_0
	v_pack_b32_f16 v132, v132, v134
	v_pk_fma_f16 v134, v133, v13, v136
	v_pk_fma_f16 v133, v133, v138, v135
	v_pk_mul_f16 v131, v132, v131
	v_pk_fma_f16 v135, v131, v13, v10
	ds_read_u16 v10, v49 offset:312
	v_pk_fma_f16 v136, v131, v138, v137
	v_mul_u32_u24_e32 v137, 0x10001, v12
	v_add_co_u32 v12, vcc_lo, v72, s28
	v_add_co_ci_u32_e64 v13, null, 0, v73, vcc_lo
	v_add_co_u32 v131, vcc_lo, v70, s28
	v_add_co_ci_u32_e64 v132, null, 0, v71, vcc_lo
	s_waitcnt lgkmcnt(0)
	v_mul_u32_u24_e32 v138, 0x10001, v10
	global_load_ushort v10, v[12:13], off
	global_load_dword v12, v[131:132], off offset:2
	ds_read_u16 v132, v49 offset:316
	s_waitcnt lgkmcnt(0)
	v_mul_u32_u24_e32 v132, 0x10001, v132
	s_waitcnt vmcnt(1)
	v_mul_u32_u24_e32 v10, 0x10001, v10
	s_waitcnt vmcnt(0)
	v_pk_lshrrev_b16 v13, 8, v12 op_sel:[1,0] op_sel_hi:[0,0]
	v_pk_lshrrev_b16 v12, 8, v12 op_sel:[1,1] op_sel_hi:[0,1]
	v_lshrrev_b32_e32 v131, 16, v13
	v_cvt_f16_i16_sdwa v13, sext(v13) dst_sel:DWORD dst_unused:UNUSED_PAD src0_sel:BYTE_0
	v_cvt_f16_i16_sdwa v131, sext(v131) dst_sel:DWORD dst_unused:UNUSED_PAD src0_sel:BYTE_0
	v_pack_b32_f16 v13, v13, v131
	v_lshrrev_b32_e32 v131, 16, v12
	v_cvt_f16_i16_sdwa v12, sext(v12) dst_sel:DWORD dst_unused:UNUSED_PAD src0_sel:BYTE_0
	v_pk_mul_f16 v13, v13, v10
	v_cvt_f16_i16_sdwa v131, sext(v131) dst_sel:DWORD dst_unused:UNUSED_PAD src0_sel:BYTE_0
	v_pack_b32_f16 v12, v12, v131
	v_pk_mul_f16 v131, v12, v10
	v_pk_fma_f16 v12, v13, v138, v133
	v_add_co_u32 v133, vcc_lo, v68, s28
	v_pk_fma_f16 v10, v13, v137, v134
	v_pk_fma_f16 v13, v131, v137, v135
	v_add_co_ci_u32_e64 v134, null, 0, v69, vcc_lo
	v_add_co_u32 v135, vcc_lo, v66, s28
	v_pk_fma_f16 v131, v131, v138, v136
	v_add_co_ci_u32_e64 v136, null, 0, v67, vcc_lo
	global_load_ushort v133, v[133:134], off
	v_add_co_u32 v50, vcc_lo, v50, s5
	global_load_dword v134, v[135:136], off offset:2
	v_add_co_ci_u32_e64 v51, null, 0, v51, vcc_lo
	v_add_co_u32 v41, vcc_lo, v41, s8
	v_add_co_ci_u32_e64 v42, null, s9, v42, vcc_lo
	v_add_co_u32 v52, vcc_lo, v52, s5
	;; [unrolled: 2-line block ×38, first 2 shown]
	v_add_co_ci_u32_e64 v125, null, 0, v125, vcc_lo
	s_waitcnt vmcnt(1)
	v_mul_u32_u24_e32 v133, 0x10001, v133
	s_waitcnt vmcnt(0)
	v_pk_lshrrev_b16 v135, 8, v134 op_sel:[1,0] op_sel_hi:[0,0]
	v_pk_lshrrev_b16 v134, 8, v134 op_sel:[1,1] op_sel_hi:[0,1]
	v_lshrrev_b32_e32 v136, 16, v135
	v_cvt_f16_i16_sdwa v135, sext(v135) dst_sel:DWORD dst_unused:UNUSED_PAD src0_sel:BYTE_0
	v_cvt_f16_i16_sdwa v136, sext(v136) dst_sel:DWORD dst_unused:UNUSED_PAD src0_sel:BYTE_0
	v_pack_b32_f16 v135, v135, v136
	v_lshrrev_b32_e32 v136, 16, v134
	v_cvt_f16_i16_sdwa v134, sext(v134) dst_sel:DWORD dst_unused:UNUSED_PAD src0_sel:BYTE_0
	v_pk_mul_f16 v135, v135, v133
	v_cvt_f16_i16_sdwa v136, sext(v136) dst_sel:DWORD dst_unused:UNUSED_PAD src0_sel:BYTE_0
	v_pk_fma_f16 v10, v135, v11, v10
	v_pack_b32_f16 v134, v134, v136
	v_pk_fma_f16 v12, v135, v132, v12
	v_pk_mul_f16 v133, v134, v133
	v_pk_fma_f16 v11, v133, v11, v13
	v_pk_fma_f16 v13, v133, v132, v131
	s_cbranch_scc1 .LBB9_38
; %bb.36:                               ;   in Loop: Header=BB9_27 Depth=1
	v_mov_b32_e32 v132, v30
	v_mov_b32_e32 v131, v31
	s_branch .LBB9_27
.LBB9_37:
	v_mov_b32_e32 v30, 0xfeffffff
	v_mov_b32_e32 v39, 0
	;; [unrolled: 1-line block ×4, first 2 shown]
	s_branch .LBB9_39
.LBB9_38:
	ds_write_b128 v35, v[10:13]
.LBB9_39:
	s_cmp_eq_u64 s[20:21], 0
	s_cselect_b32 s1, -1, 0
	s_cmp_lg_u32 s34, 0
	s_cselect_b32 s2, -1, 0
	s_or_b32 s1, s2, s1
	s_nor_b32 s0, s1, s0
	s_and_saveexec_b32 s1, s0
	s_cbranch_execz .LBB9_41
; %bb.40:
	s_ashr_i32 s39, s38, 31
	v_cmp_eq_u32_e32 vcc_lo, 1, v1
	s_lshl_b64 s[2:3], s[38:39], 2
	s_add_u32 s2, s20, s2
	s_addc_u32 s3, s21, s3
	v_cndmask_b32_e32 v2, v30, v31, vcc_lo
	s_load_dword s0, s[2:3], 0x0
	v_max_f32_e32 v3, v2, v2
	s_waitcnt lgkmcnt(0)
	v_max_f32_e64 v4, s0, s0
	v_max_f32_e32 v4, v4, v3
	v_sub_f32_e32 v5, s0, v4
	v_sub_f32_e32 v6, v2, v4
	v_cndmask_b32_e32 v31, v31, v4, vcc_lo
	v_mul_f32_e32 v2, 0x3fb8aa3b, v5
	v_mul_f32_e32 v3, 0x3fb8aa3b, v6
	v_cmp_ngt_f32_e64 s0, 0xc2ce8ed0, v5
	v_fma_f32 v7, 0x3fb8aa3b, v5, -v2
	v_rndne_f32_e32 v8, v2
	v_fma_f32 v9, 0x3fb8aa3b, v6, -v3
	v_rndne_f32_e32 v10, v3
	v_fmac_f32_e32 v7, 0x32a5705f, v5
	v_sub_f32_e32 v2, v2, v8
	v_fmac_f32_e32 v9, 0x32a5705f, v6
	v_sub_f32_e32 v3, v3, v10
	v_add_f32_e32 v2, v2, v7
	v_cvt_i32_f32_e32 v7, v8
	v_add_f32_e32 v3, v3, v9
	v_cvt_i32_f32_e32 v8, v10
	v_lshl_add_u32 v9, v1, 3, v35
	v_exp_f32_e32 v2, v2
	v_exp_f32_e32 v3, v3
	v_ldexp_f32 v7, v2, v7
	v_ldexp_f32 v8, v3, v8
	ds_read_b64 v[2:3], v9
	v_cndmask_b32_e64 v7, 0, v7, s0
	v_cmp_ngt_f32_e64 s0, 0xc2ce8ed0, v6
	v_cndmask_b32_e64 v8, 0, v8, s0
	v_cmp_nlt_f32_e64 s0, 0x42b17218, v5
	v_cndmask_b32_e64 v5, 0x7f800000, v7, s0
	v_cmp_nlt_f32_e64 s0, 0x42b17218, v6
	v_mov_b32_e32 v7, 0x10001
	v_cndmask_b32_e64 v6, 0x7f800000, v8, s0
	v_cmp_eq_u32_e64 s0, 0, v0
	v_cndmask_b32_e32 v8, v39, v40, vcc_lo
	v_cvt_f16_f32_e32 v10, v6
	v_cndmask_b32_e64 v5, 0, v5, s0
	v_cmp_eq_u32_e64 s0, 0, v1
	v_fmac_f32_e32 v5, v8, v6
	v_mul_u32_u24_sdwa v6, v10, v7 dst_sel:DWORD dst_unused:UNUSED_PAD src0_sel:WORD_0 src1_sel:DWORD
	v_cndmask_b32_e64 v30, v30, v4, s0
	v_cndmask_b32_e32 v40, v40, v5, vcc_lo
	s_waitcnt lgkmcnt(0)
	v_pk_mul_f16 v2, v2, v6
	v_pk_mul_f16 v3, v3, v6
	v_cndmask_b32_e64 v39, v39, v5, s0
	ds_write_b64 v9, v[2:3]
.LBB9_41:
	s_or_b32 exec_lo, exec_lo, s1
	v_add_nc_u32_e32 v4, 0x500, v34
	v_or_b32_e32 v10, 0x400, v34
	s_mov_b32 s0, exec_lo
	v_cmpx_eq_u32_e32 0, v1
	s_cbranch_execz .LBB9_43
; %bb.42:
	v_mov_b32_e32 v2, 0xfeffffff
	v_mov_b32_e32 v3, 0
	ds_write2_b32 v10, v2, v2 offset1:32
	ds_write2_b32 v4, v3, v3 offset1:32
.LBB9_43:
	s_or_b32 exec_lo, exec_lo, s0
	v_cmp_eq_u32_e64 s0, 0, v0
	s_waitcnt lgkmcnt(0)
	s_barrier
	buffer_gl0_inv
	s_and_saveexec_b32 s1, s0
; %bb.44:
	v_lshlrev_b32_e32 v2, 2, v1
	v_add_nc_u32_e32 v2, 0x400, v2
	ds_write2_b32 v2, v30, v31 offset1:32
; %bb.45:
	s_or_b32 exec_lo, exec_lo, s1
	s_cmp_lt_i32 s30, s36
	s_waitcnt lgkmcnt(0)
	s_barrier
	buffer_gl0_inv
	s_cbranch_scc1 .LBB9_47
; %bb.46:
	s_add_u32 s2, s6, 0xd0
	s_addc_u32 s3, s7, 0
	s_cbranch_execz .LBB9_48
	s_branch .LBB9_60
.LBB9_47:
                                        ; implicit-def: $sgpr2_sgpr3
.LBB9_48:
	ds_read_b32 v2, v10
	v_xor_b32_e32 v3, 16, v37
	v_xor_b32_e32 v6, 8, v37
	;; [unrolled: 1-line block ×3, first 2 shown]
	v_lshlrev_b32_e32 v17, 3, v0
	v_cmp_gt_i32_e32 vcc_lo, 32, v3
	v_and_b32_e32 v14, 0x380, v17
	v_cndmask_b32_e32 v3, v37, v3, vcc_lo
	v_cmp_gt_i32_e32 vcc_lo, 32, v6
	v_lshl_add_u32 v18, v1, 8, v14
	v_lshl_add_u32 v1, v1, 2, 0x500
	v_lshlrev_b32_e32 v5, 2, v3
	v_cndmask_b32_e32 v6, v37, v6, vcc_lo
	v_cmp_gt_i32_e32 vcc_lo, 32, v7
	s_waitcnt lgkmcnt(0)
	ds_bpermute_b32 v3, v5, v2
	v_max_f32_e32 v2, v2, v2
	v_lshlrev_b32_e32 v6, 2, v6
	v_cndmask_b32_e32 v7, v37, v7, vcc_lo
	v_lshlrev_b32_e32 v8, 2, v7
	v_xor_b32_e32 v7, 2, v37
	v_cmp_gt_i32_e32 vcc_lo, 32, v7
	v_cndmask_b32_e32 v7, v37, v7, vcc_lo
	s_waitcnt lgkmcnt(0)
	v_max_f32_e32 v3, v3, v3
	v_lshlrev_b32_e32 v9, 2, v7
	v_max_f32_e32 v2, v2, v3
	v_xor_b32_e32 v7, 1, v37
	ds_bpermute_b32 v3, v6, v2
	v_cmp_gt_i32_e32 vcc_lo, 32, v7
	v_cndmask_b32_e32 v7, v37, v7, vcc_lo
	v_lshlrev_b32_e32 v7, 2, v7
	s_waitcnt lgkmcnt(0)
	v_max_f32_e32 v3, v3, v3
	v_max_f32_e32 v2, v2, v3
	ds_bpermute_b32 v3, v8, v2
	s_waitcnt lgkmcnt(0)
	v_max_f32_e32 v3, v3, v3
	v_max_f32_e32 v2, v2, v3
	ds_bpermute_b32 v3, v9, v2
	;; [unrolled: 4-line block ×3, first 2 shown]
	s_waitcnt lgkmcnt(0)
	v_max_f32_e32 v3, v3, v3
	v_max_f32_e32 v2, v2, v3
	v_sub_f32_e32 v3, v30, v2
	v_mul_f32_e32 v11, 0x3fb8aa3b, v3
	v_cmp_ngt_f32_e32 vcc_lo, 0xc2ce8ed0, v3
	v_fma_f32 v12, 0x3fb8aa3b, v3, -v11
	v_rndne_f32_e32 v13, v11
	v_fmamk_f32 v12, v3, 0x32a5705f, v12
	v_sub_f32_e32 v11, v11, v13
	v_add_f32_e32 v11, v11, v12
	v_cvt_i32_f32_e32 v12, v13
	v_mov_b32_e32 v13, 0x10001
	v_exp_f32_e32 v11, v11
	v_ldexp_f32 v11, v11, v12
	v_cndmask_b32_e32 v11, 0, v11, vcc_lo
	v_cmp_nlt_f32_e32 vcc_lo, 0x42b17218, v3
	v_cndmask_b32_e32 v3, 0x7f800000, v11, vcc_lo
	v_mul_f32_e32 v11, v39, v3
	ds_bpermute_b32 v11, v5, v11
	s_waitcnt lgkmcnt(0)
	v_fmac_f32_e32 v11, v39, v3
	v_cvt_f16_f32_e32 v3, v3
	ds_bpermute_b32 v12, v6, v11
	v_mul_u32_u24_sdwa v3, v3, v13 dst_sel:DWORD dst_unused:UNUSED_PAD src0_sel:WORD_0 src1_sel:DWORD
	s_waitcnt lgkmcnt(0)
	v_add_f32_e32 v11, v11, v12
	ds_bpermute_b32 v12, v8, v11
	s_waitcnt lgkmcnt(0)
	v_add_f32_e32 v11, v11, v12
	ds_bpermute_b32 v12, v9, v11
	s_waitcnt lgkmcnt(0)
	v_add_f32_e32 v15, v11, v12
	ds_read_b64 v[11:12], v35
	ds_bpermute_b32 v16, v7, v15
	s_waitcnt lgkmcnt(1)
	v_pk_mul_f16 v13, v11, v3
	v_pk_mul_f16 v14, v12, v3
	v_and_or_b32 v11, 0x78, v17, v18
	ds_write_b64 v35, v[13:14]
	ds_write_b64 v11, v[13:14]
	s_waitcnt lgkmcnt(2)
	v_add_f32_e32 v39, v15, v16
	s_and_saveexec_b32 s1, s0
; %bb.49:
	ds_write_b32 v1, v39
; %bb.50:
	s_or_b32 exec_lo, exec_lo, s1
	v_cmp_gt_u32_e64 s1, 64, v32
	s_mul_i32 s4, s33, s36
	s_add_u32 s2, s6, 0xd0
	s_addc_u32 s3, s7, 0
	s_add_i32 s4, s30, s4
	s_waitcnt lgkmcnt(0)
	s_barrier
	buffer_gl0_inv
	s_and_saveexec_b32 s5, s1
	s_cbranch_execz .LBB9_52
; %bb.51:
	ds_read_b32 v3, v4
	ds_read_u16 v12, v33
	ds_read_u16 v13, v33 offset:128
	ds_read_u16 v14, v33 offset:256
	;; [unrolled: 1-line block ×6, first 2 shown]
	s_load_dword s6, s[2:3], 0x4
	s_mul_i32 s7, s4, s37
	s_add_i32 s7, s7, s38
	s_waitcnt lgkmcnt(0)
	ds_bpermute_b32 v19, v5, v3
	v_cvt_f32_f16_e32 v12, v12
	v_cvt_f32_f16_e32 v13, v13
	;; [unrolled: 1-line block ×4, first 2 shown]
	v_add_f32_e32 v12, 0, v12
	s_mul_i32 s7, s6, s7
	s_add_i32 s7, s7, s34
	v_add_f32_e32 v12, v12, v13
	ds_read_u16 v13, v33 offset:896
	s_cmp_eq_u32 s6, 1
	v_add_f32_e32 v12, v12, v14
	v_cvt_f32_f16_e32 v14, v16
	v_cvt_f32_f16_e32 v16, v17
	s_waitcnt lgkmcnt(1)
	v_add_f32_e32 v3, v3, v19
	v_add_f32_e32 v12, v12, v15
	ds_bpermute_b32 v19, v6, v3
	v_add_f32_e32 v12, v12, v14
	v_cvt_f32_f16_e32 v14, v18
	v_add_f32_e32 v12, v12, v16
	s_waitcnt lgkmcnt(1)
	v_cvt_f32_f16_e32 v13, v13
	v_add_f32_e32 v12, v12, v14
	v_add_f32_e32 v14, v12, v13
	v_mov_b32_e32 v13, 0
	s_waitcnt lgkmcnt(0)
	v_add_f32_e32 v3, v3, v19
	ds_bpermute_b32 v19, v8, v3
	s_waitcnt lgkmcnt(0)
	v_add_f32_e32 v3, v3, v19
	ds_bpermute_b32 v19, v9, v3
	s_waitcnt lgkmcnt(0)
	v_add_f32_e32 v3, v3, v19
	ds_bpermute_b32 v15, v7, v3
	s_waitcnt lgkmcnt(0)
	v_add_f32_e32 v39, v3, v15
	v_div_scale_f32 v3, null, v39, v39, v14
	v_div_scale_f32 v16, vcc_lo, v14, v39, v14
	v_rcp_f32_e32 v15, v3
	v_fma_f32 v12, -v3, v15, 1.0
	v_fmac_f32_e32 v15, v12, v15
	v_mul_f32_e32 v17, v16, v15
	v_fma_f32 v12, -v3, v17, v16
	v_fmac_f32_e32 v17, v12, v15
	v_lshl_or_b32 v12, s7, 6, v32
	v_fma_f32 v3, -v3, v17, v16
	v_lshlrev_b64 v[12:13], 2, v[12:13]
	v_div_fmas_f32 v3, v3, v15, v17
	v_add_co_u32 v12, vcc_lo, s24, v12
	v_add_co_ci_u32_e64 v13, null, s25, v13, vcc_lo
	v_div_fixup_f32 v3, v3, v39, v14
	s_cselect_b32 vcc_lo, -1, 0
	v_cndmask_b32_e32 v3, v14, v3, vcc_lo
	global_store_dword v[12:13], v3, off
.LBB9_52:
	s_or_b32 exec_lo, exec_lo, s5
	s_or_b32 s5, s30, 1
	s_waitcnt_vscnt null, 0x0
	s_cmp_ge_i32 s5, s36
	s_barrier
	buffer_gl0_inv
	s_cbranch_scc1 .LBB9_58
; %bb.53:
	ds_read_b32 v3, v10 offset:128
	v_mov_b32_e32 v16, 0x10001
	s_waitcnt lgkmcnt(0)
	ds_bpermute_b32 v10, v5, v3
	v_max_f32_e32 v3, v3, v3
	s_waitcnt lgkmcnt(0)
	v_max_f32_e32 v10, v10, v10
	v_max_f32_e32 v3, v3, v10
	ds_bpermute_b32 v10, v6, v3
	s_waitcnt lgkmcnt(0)
	v_max_f32_e32 v10, v10, v10
	v_max_f32_e32 v3, v3, v10
	ds_bpermute_b32 v10, v8, v3
	;; [unrolled: 4-line block ×4, first 2 shown]
	s_waitcnt lgkmcnt(0)
	v_max_f32_e32 v10, v10, v10
	v_max_f32_e32 v3, v3, v10
	v_sub_f32_e32 v10, v31, v3
	v_mul_f32_e32 v12, 0x3fb8aa3b, v10
	v_cmp_ngt_f32_e32 vcc_lo, 0xc2ce8ed0, v10
	v_fma_f32 v13, 0x3fb8aa3b, v10, -v12
	v_rndne_f32_e32 v14, v12
	v_fmamk_f32 v13, v10, 0x32a5705f, v13
	v_sub_f32_e32 v12, v12, v14
	v_add_f32_e32 v12, v12, v13
	v_cvt_i32_f32_e32 v13, v14
	v_exp_f32_e32 v12, v12
	v_ldexp_f32 v12, v12, v13
	v_cndmask_b32_e32 v12, 0, v12, vcc_lo
	v_cmp_nlt_f32_e32 vcc_lo, 0x42b17218, v10
	v_cndmask_b32_e32 v10, 0x7f800000, v12, vcc_lo
	v_mul_f32_e32 v12, v40, v10
	ds_bpermute_b32 v12, v5, v12
	s_waitcnt lgkmcnt(0)
	v_fmac_f32_e32 v12, v40, v10
	v_cvt_f16_f32_e32 v10, v10
	ds_bpermute_b32 v13, v6, v12
	v_mul_u32_u24_sdwa v10, v10, v16 dst_sel:DWORD dst_unused:UNUSED_PAD src0_sel:WORD_0 src1_sel:DWORD
	s_waitcnt lgkmcnt(0)
	v_add_f32_e32 v12, v12, v13
	ds_bpermute_b32 v13, v8, v12
	s_waitcnt lgkmcnt(0)
	v_add_f32_e32 v12, v12, v13
	ds_bpermute_b32 v13, v9, v12
	s_waitcnt lgkmcnt(0)
	v_add_f32_e32 v14, v12, v13
	ds_read_b64 v[12:13], v35 offset:8
	ds_bpermute_b32 v15, v7, v14
	s_waitcnt lgkmcnt(1)
	v_pk_mul_f16 v12, v12, v10
	v_pk_mul_f16 v13, v13, v10
	ds_write_b64 v35, v[12:13] offset:8
	ds_write_b64 v11, v[12:13]
	s_waitcnt lgkmcnt(2)
	v_add_f32_e32 v40, v14, v15
	s_and_saveexec_b32 s5, s0
; %bb.54:
	ds_write_b32 v1, v40 offset:128
; %bb.55:
	s_or_b32 exec_lo, exec_lo, s5
	s_waitcnt lgkmcnt(0)
	s_barrier
	buffer_gl0_inv
	s_and_saveexec_b32 s0, s1
	s_cbranch_execz .LBB9_57
; %bb.56:
	ds_read_b32 v1, v4 offset:128
	ds_read_u16 v4, v33
	ds_read_u16 v10, v33 offset:128
	ds_read_u16 v11, v33 offset:256
	;; [unrolled: 1-line block ×6, first 2 shown]
	s_load_dword s1, s[2:3], 0x4
	s_add_i32 s4, s4, 1
	s_mul_i32 s4, s4, s37
	s_add_i32 s4, s4, s38
	s_waitcnt lgkmcnt(0)
	ds_bpermute_b32 v5, v5, v1
	v_cvt_f32_f16_e32 v4, v4
	v_add_f32_e32 v4, 0, v4
	s_mul_i32 s4, s1, s4
	s_add_i32 s4, s4, s34
	s_cmp_eq_u32 s1, 1
	s_waitcnt lgkmcnt(0)
	v_add_f32_e32 v1, v1, v5
	ds_bpermute_b32 v5, v6, v1
	v_cvt_f32_f16_e32 v6, v10
	v_add_f32_e32 v4, v4, v6
	ds_read_u16 v6, v33 offset:896
	s_waitcnt lgkmcnt(1)
	v_add_f32_e32 v1, v1, v5
	ds_bpermute_b32 v5, v8, v1
	v_cvt_f32_f16_e32 v8, v11
	s_waitcnt lgkmcnt(1)
	v_cvt_f32_f16_e32 v6, v6
	v_add_f32_e32 v4, v4, v8
	v_cvt_f32_f16_e32 v8, v14
	s_waitcnt lgkmcnt(0)
	v_add_f32_e32 v1, v1, v5
	ds_bpermute_b32 v5, v9, v1
	v_cvt_f32_f16_e32 v9, v12
	v_add_f32_e32 v4, v4, v9
	s_waitcnt lgkmcnt(0)
	v_add_f32_e32 v1, v1, v5
	v_cvt_f32_f16_e32 v5, v13
	ds_bpermute_b32 v7, v7, v1
	v_add_f32_e32 v4, v4, v5
	v_cvt_f32_f16_e32 v5, v15
	v_add_f32_e32 v4, v4, v8
	v_add_f32_e32 v4, v4, v5
	v_mov_b32_e32 v5, 0
	v_add_f32_e32 v6, v4, v6
	s_waitcnt lgkmcnt(0)
	v_add_f32_e32 v40, v1, v7
	v_div_scale_f32 v1, null, v40, v40, v6
	v_div_scale_f32 v8, vcc_lo, v6, v40, v6
	v_rcp_f32_e32 v7, v1
	v_fma_f32 v4, -v1, v7, 1.0
	v_fmac_f32_e32 v7, v4, v7
	v_mul_f32_e32 v9, v8, v7
	v_fma_f32 v4, -v1, v9, v8
	v_fmac_f32_e32 v9, v4, v7
	v_lshl_or_b32 v4, s4, 6, v32
	v_fma_f32 v1, -v1, v9, v8
	v_lshlrev_b64 v[4:5], 2, v[4:5]
	v_div_fmas_f32 v1, v1, v7, v9
	v_add_co_u32 v4, vcc_lo, s24, v4
	v_add_co_ci_u32_e64 v5, null, s25, v5, vcc_lo
	v_div_fixup_f32 v1, v1, v40, v6
	s_cselect_b32 vcc_lo, -1, 0
	v_cndmask_b32_e32 v1, v6, v1, vcc_lo
	global_store_dword v[4:5], v1, off
.LBB9_57:
	s_or_b32 exec_lo, exec_lo, s0
	s_branch .LBB9_59
.LBB9_58:
	v_mov_b32_e32 v3, v31
.LBB9_59:
	v_mov_b32_e32 v31, v3
	v_mov_b32_e32 v30, v2
.LBB9_60:
	s_load_dword s1, s[2:3], 0x4
	v_or_b32_e32 v0, s30, v0
	v_cmp_gt_u32_e32 vcc_lo, 2, v32
	v_cmp_gt_i32_e64 s0, s36, v0
	s_waitcnt lgkmcnt(0)
	s_cmp_lg_u32 s1, 1
	s_cselect_b32 s2, -1, 0
	s_and_b32 s2, s2, vcc_lo
	s_and_b32 s0, s2, s0
	s_and_saveexec_b32 s2, s0
	s_cbranch_execz .LBB9_62
; %bb.61:
	v_mad_u64_u32 v[0:1], null, s33, s36, v[0:1]
	v_cmp_eq_u32_e32 vcc_lo, 1, v32
	v_cndmask_b32_e32 v2, v30, v31, vcc_lo
	v_mad_u64_u32 v[0:1], null, v0, s37, s[38:39]
	v_cndmask_b32_e32 v3, v39, v40, vcc_lo
	v_mad_u64_u32 v[0:1], null, s1, v0, s[34:35]
	v_mov_b32_e32 v1, 0
	v_lshlrev_b64 v[0:1], 3, v[0:1]
	v_add_co_u32 v0, vcc_lo, s26, v0
	v_add_co_ci_u32_e64 v1, null, s27, v1, vcc_lo
	global_store_dwordx2 v[0:1], v[2:3], off
.LBB9_62:
	s_endpgm
	.section	.rodata,"a",@progbits
	.p2align	6, 0x0
	.amdhsa_kernel _ZL18flash_attn_ext_vecILi64ELi2EL9ggml_type7ELS0_8ELb0EEvPKcS2_S2_S2_S2_PKiPfP15HIP_vector_typeIfLj2EEffffjfiS6_IjLj3EEiiiiiiiiiiiliiliiiiil
		.amdhsa_group_segment_fixed_size 3584
		.amdhsa_private_segment_fixed_size 0
		.amdhsa_kernarg_size 464
		.amdhsa_user_sgpr_count 8
		.amdhsa_user_sgpr_private_segment_buffer 1
		.amdhsa_user_sgpr_dispatch_ptr 1
		.amdhsa_user_sgpr_queue_ptr 0
		.amdhsa_user_sgpr_kernarg_segment_ptr 1
		.amdhsa_user_sgpr_dispatch_id 0
		.amdhsa_user_sgpr_flat_scratch_init 0
		.amdhsa_user_sgpr_private_segment_size 0
		.amdhsa_wavefront_size32 1
		.amdhsa_uses_dynamic_stack 0
		.amdhsa_system_sgpr_private_segment_wavefront_offset 0
		.amdhsa_system_sgpr_workgroup_id_x 1
		.amdhsa_system_sgpr_workgroup_id_y 1
		.amdhsa_system_sgpr_workgroup_id_z 1
		.amdhsa_system_sgpr_workgroup_info 0
		.amdhsa_system_vgpr_workitem_id 2
		.amdhsa_next_free_vgpr 151
		.amdhsa_next_free_sgpr 50
		.amdhsa_reserve_vcc 1
		.amdhsa_reserve_flat_scratch 0
		.amdhsa_float_round_mode_32 0
		.amdhsa_float_round_mode_16_64 0
		.amdhsa_float_denorm_mode_32 3
		.amdhsa_float_denorm_mode_16_64 3
		.amdhsa_dx10_clamp 1
		.amdhsa_ieee_mode 1
		.amdhsa_fp16_overflow 0
		.amdhsa_workgroup_processor_mode 1
		.amdhsa_memory_ordered 1
		.amdhsa_forward_progress 1
		.amdhsa_shared_vgpr_count 0
		.amdhsa_exception_fp_ieee_invalid_op 0
		.amdhsa_exception_fp_denorm_src 0
		.amdhsa_exception_fp_ieee_div_zero 0
		.amdhsa_exception_fp_ieee_overflow 0
		.amdhsa_exception_fp_ieee_underflow 0
		.amdhsa_exception_fp_ieee_inexact 0
		.amdhsa_exception_int_div_zero 0
	.end_amdhsa_kernel
	.section	.text._ZL18flash_attn_ext_vecILi64ELi2EL9ggml_type7ELS0_8ELb0EEvPKcS2_S2_S2_S2_PKiPfP15HIP_vector_typeIfLj2EEffffjfiS6_IjLj3EEiiiiiiiiiiiliiliiiiil,"axG",@progbits,_ZL18flash_attn_ext_vecILi64ELi2EL9ggml_type7ELS0_8ELb0EEvPKcS2_S2_S2_S2_PKiPfP15HIP_vector_typeIfLj2EEffffjfiS6_IjLj3EEiiiiiiiiiiiliiliiiiil,comdat
.Lfunc_end9:
	.size	_ZL18flash_attn_ext_vecILi64ELi2EL9ggml_type7ELS0_8ELb0EEvPKcS2_S2_S2_S2_PKiPfP15HIP_vector_typeIfLj2EEffffjfiS6_IjLj3EEiiiiiiiiiiiliiliiiiil, .Lfunc_end9-_ZL18flash_attn_ext_vecILi64ELi2EL9ggml_type7ELS0_8ELb0EEvPKcS2_S2_S2_S2_PKiPfP15HIP_vector_typeIfLj2EEffffjfiS6_IjLj3EEiiiiiiiiiiiliiliiiiil
                                        ; -- End function
	.set _ZL18flash_attn_ext_vecILi64ELi2EL9ggml_type7ELS0_8ELb0EEvPKcS2_S2_S2_S2_PKiPfP15HIP_vector_typeIfLj2EEffffjfiS6_IjLj3EEiiiiiiiiiiiliiliiiiil.num_vgpr, 151
	.set _ZL18flash_attn_ext_vecILi64ELi2EL9ggml_type7ELS0_8ELb0EEvPKcS2_S2_S2_S2_PKiPfP15HIP_vector_typeIfLj2EEffffjfiS6_IjLj3EEiiiiiiiiiiiliiliiiiil.num_agpr, 0
	.set _ZL18flash_attn_ext_vecILi64ELi2EL9ggml_type7ELS0_8ELb0EEvPKcS2_S2_S2_S2_PKiPfP15HIP_vector_typeIfLj2EEffffjfiS6_IjLj3EEiiiiiiiiiiiliiliiiiil.numbered_sgpr, 50
	.set _ZL18flash_attn_ext_vecILi64ELi2EL9ggml_type7ELS0_8ELb0EEvPKcS2_S2_S2_S2_PKiPfP15HIP_vector_typeIfLj2EEffffjfiS6_IjLj3EEiiiiiiiiiiiliiliiiiil.num_named_barrier, 0
	.set _ZL18flash_attn_ext_vecILi64ELi2EL9ggml_type7ELS0_8ELb0EEvPKcS2_S2_S2_S2_PKiPfP15HIP_vector_typeIfLj2EEffffjfiS6_IjLj3EEiiiiiiiiiiiliiliiiiil.private_seg_size, 0
	.set _ZL18flash_attn_ext_vecILi64ELi2EL9ggml_type7ELS0_8ELb0EEvPKcS2_S2_S2_S2_PKiPfP15HIP_vector_typeIfLj2EEffffjfiS6_IjLj3EEiiiiiiiiiiiliiliiiiil.uses_vcc, 1
	.set _ZL18flash_attn_ext_vecILi64ELi2EL9ggml_type7ELS0_8ELb0EEvPKcS2_S2_S2_S2_PKiPfP15HIP_vector_typeIfLj2EEffffjfiS6_IjLj3EEiiiiiiiiiiiliiliiiiil.uses_flat_scratch, 0
	.set _ZL18flash_attn_ext_vecILi64ELi2EL9ggml_type7ELS0_8ELb0EEvPKcS2_S2_S2_S2_PKiPfP15HIP_vector_typeIfLj2EEffffjfiS6_IjLj3EEiiiiiiiiiiiliiliiiiil.has_dyn_sized_stack, 0
	.set _ZL18flash_attn_ext_vecILi64ELi2EL9ggml_type7ELS0_8ELb0EEvPKcS2_S2_S2_S2_PKiPfP15HIP_vector_typeIfLj2EEffffjfiS6_IjLj3EEiiiiiiiiiiiliiliiiiil.has_recursion, 0
	.set _ZL18flash_attn_ext_vecILi64ELi2EL9ggml_type7ELS0_8ELb0EEvPKcS2_S2_S2_S2_PKiPfP15HIP_vector_typeIfLj2EEffffjfiS6_IjLj3EEiiiiiiiiiiiliiliiiiil.has_indirect_call, 0
	.section	.AMDGPU.csdata,"",@progbits
; Kernel info:
; codeLenInByte = 14936
; TotalNumSgprs: 52
; NumVgprs: 151
; ScratchSize: 0
; MemoryBound: 0
; FloatMode: 240
; IeeeMode: 1
; LDSByteSize: 3584 bytes/workgroup (compile time only)
; SGPRBlocks: 0
; VGPRBlocks: 18
; NumSGPRsForWavesPerEU: 52
; NumVGPRsForWavesPerEU: 151
; Occupancy: 6
; WaveLimiterHint : 0
; COMPUTE_PGM_RSRC2:SCRATCH_EN: 0
; COMPUTE_PGM_RSRC2:USER_SGPR: 8
; COMPUTE_PGM_RSRC2:TRAP_HANDLER: 0
; COMPUTE_PGM_RSRC2:TGID_X_EN: 1
; COMPUTE_PGM_RSRC2:TGID_Y_EN: 1
; COMPUTE_PGM_RSRC2:TGID_Z_EN: 1
; COMPUTE_PGM_RSRC2:TIDIG_COMP_CNT: 2
	.section	.text._ZL25flash_attn_mask_to_KV_maxILi2EEvPK7__half2Piiii,"axG",@progbits,_ZL25flash_attn_mask_to_KV_maxILi2EEvPK7__half2Piiii,comdat
	.globl	_ZL25flash_attn_mask_to_KV_maxILi2EEvPK7__half2Piiii ; -- Begin function _ZL25flash_attn_mask_to_KV_maxILi2EEvPK7__half2Piiii
	.p2align	8
	.type	_ZL25flash_attn_mask_to_KV_maxILi2EEvPK7__half2Piiii,@function
_ZL25flash_attn_mask_to_KV_maxILi2EEvPK7__half2Piiii: ; @_ZL25flash_attn_mask_to_KV_maxILi2EEvPK7__half2Piiii
; %bb.0:
	s_load_dwordx4 s[8:11], s[4:5], 0x0
	s_mov_b32 s0, exec_lo
	v_cmpx_gt_u32_e32 32, v0
; %bb.1:
	v_lshlrev_b32_e32 v1, 2, v0
	v_mov_b32_e32 v2, 1
	ds_write_b32 v1, v2
; %bb.2:
	s_or_b32 exec_lo, exec_lo, s0
	s_clause 0x1
	s_load_dwordx4 s[12:15], s[4:5], 0x10
	s_load_dword s1, s[4:5], 0x20
	v_and_b32_e32 v1, 31, v0
	v_lshrrev_b32_e32 v3, 3, v0
	v_mov_b32_e32 v2, 0
	v_mov_b32_e32 v4, 0x204
	s_waitcnt lgkmcnt(0)
	v_lshlrev_b32_e32 v5, 2, v1
	s_barrier
	buffer_gl0_inv
	s_mul_i32 s0, s6, s13
	s_mul_i32 s2, s14, s7
	s_lshl_b32 s0, s0, 1
	s_add_i32 s2, s2, s0
	v_cmp_eq_u32_e64 s0, 0, v1
	s_ashr_i32 s3, s2, 31
	s_lshl_b64 s[4:5], s[2:3], 2
	s_add_u32 s3, s8, s4
	s_addc_u32 s4, s9, s5
	s_lshl_b32 s5, s12, 8
	s_branch .LBB10_4
.LBB10_3:                               ;   in Loop: Header=BB10_4 Depth=1
	s_or_b32 exec_lo, exec_lo, s8
	s_waitcnt lgkmcnt(0)
	s_barrier
	buffer_gl0_inv
	ds_read_b32 v1, v5
	s_waitcnt lgkmcnt(0)
	s_barrier
	buffer_gl0_inv
	v_cmp_ne_u32_e32 vcc_lo, 0, v1
	s_cmp_lg_u32 vcc_lo, exec_lo
	s_cselect_b32 s8, -1, 0
	s_and_b32 vcc_lo, exec_lo, s8
	s_cbranch_vccnz .LBB10_12
.LBB10_4:                               ; =>This Inner Loop Header: Depth=1
	s_mov_b32 s2, s5
	s_addk_i32 s5, 0xff00
	s_cmp_lt_i32 s5, 0
	s_cbranch_scc1 .LBB10_11
; %bb.5:                                ;   in Loop: Header=BB10_4 Depth=1
	s_lshr_b32 s8, s5, 1
	v_add_nc_u32_e32 v1, s8, v0
	v_lshlrev_b64 v[6:7], 2, v[1:2]
	v_add_co_u32 v6, vcc_lo, s3, v6
	v_add_co_ci_u32_e64 v7, null, s4, v7, vcc_lo
	global_load_dword v6, v[6:7], off
	s_waitcnt vmcnt(0)
	v_cmp_class_f16_e64 s8, v6, 0x204
	v_cmp_class_f16_sdwa s9, v6, v4 src0_sel:WORD_1 src1_sel:DWORD
	s_and_b32 s12, s8, s9
	s_mov_b32 s9, 0
	s_and_saveexec_b32 s8, s12
	s_cbranch_execz .LBB10_9
; %bb.6:                                ;   in Loop: Header=BB10_4 Depth=1
	v_add_nc_u32_e32 v6, s13, v1
	v_ashrrev_i32_e32 v7, 31, v6
	v_lshlrev_b64 v[6:7], 2, v[6:7]
	v_add_co_u32 v6, vcc_lo, s3, v6
	v_add_co_ci_u32_e64 v7, null, s4, v7, vcc_lo
	global_load_dword v1, v[6:7], off
	s_waitcnt vmcnt(0)
	v_cmp_class_f16_e64 s14, v1, 0x204
	s_and_saveexec_b32 s12, s14
; %bb.7:                                ;   in Loop: Header=BB10_4 Depth=1
	v_cmp_class_f16_sdwa s9, v1, v4 src0_sel:WORD_1 src1_sel:DWORD
	s_and_b32 s9, s9, exec_lo
; %bb.8:                                ;   in Loop: Header=BB10_4 Depth=1
	s_or_b32 exec_lo, exec_lo, s12
	s_and_b32 s9, s9, exec_lo
.LBB10_9:                               ;   in Loop: Header=BB10_4 Depth=1
	s_or_b32 exec_lo, exec_lo, s8
	v_cndmask_b32_e64 v1, 0, 1, s9
	s_mov_b32 s12, exec_lo
	v_cmp_ne_u32_e32 vcc_lo, 0, v1
	s_and_saveexec_b32 s8, s0
	s_cbranch_execz .LBB10_3
; %bb.10:                               ;   in Loop: Header=BB10_4 Depth=1
	s_cmp_eq_u32 vcc_lo, s12
	s_cselect_b32 s9, -1, 0
	v_cndmask_b32_e64 v1, 0, 1, s9
	ds_write_b32 v3, v1
	s_branch .LBB10_3
.LBB10_11:                              ;   in Loop: Header=BB10_4 Depth=1
	s_cbranch_execz .LBB10_4
.LBB10_12:
	s_mov_b32 s0, exec_lo
	v_cmpx_eq_u32_e32 0, v0
	s_cbranch_execz .LBB10_14
; %bb.13:
	s_mul_i32 s0, s1, s7
	v_mov_b32_e32 v0, 0
	s_add_i32 s0, s0, s6
	v_mov_b32_e32 v1, s2
	s_ashr_i32 s1, s0, 31
	s_lshl_b64 s[0:1], s[0:1], 2
	s_add_u32 s0, s10, s0
	s_addc_u32 s1, s11, s1
	global_store_dword v0, v1, s[0:1]
.LBB10_14:
	s_endpgm
	.section	.rodata,"a",@progbits
	.p2align	6, 0x0
	.amdhsa_kernel _ZL25flash_attn_mask_to_KV_maxILi2EEvPK7__half2Piiii
		.amdhsa_group_segment_fixed_size 128
		.amdhsa_private_segment_fixed_size 0
		.amdhsa_kernarg_size 288
		.amdhsa_user_sgpr_count 6
		.amdhsa_user_sgpr_private_segment_buffer 1
		.amdhsa_user_sgpr_dispatch_ptr 0
		.amdhsa_user_sgpr_queue_ptr 0
		.amdhsa_user_sgpr_kernarg_segment_ptr 1
		.amdhsa_user_sgpr_dispatch_id 0
		.amdhsa_user_sgpr_flat_scratch_init 0
		.amdhsa_user_sgpr_private_segment_size 0
		.amdhsa_wavefront_size32 1
		.amdhsa_uses_dynamic_stack 0
		.amdhsa_system_sgpr_private_segment_wavefront_offset 0
		.amdhsa_system_sgpr_workgroup_id_x 1
		.amdhsa_system_sgpr_workgroup_id_y 1
		.amdhsa_system_sgpr_workgroup_id_z 0
		.amdhsa_system_sgpr_workgroup_info 0
		.amdhsa_system_vgpr_workitem_id 0
		.amdhsa_next_free_vgpr 8
		.amdhsa_next_free_sgpr 16
		.amdhsa_reserve_vcc 1
		.amdhsa_reserve_flat_scratch 0
		.amdhsa_float_round_mode_32 0
		.amdhsa_float_round_mode_16_64 0
		.amdhsa_float_denorm_mode_32 3
		.amdhsa_float_denorm_mode_16_64 3
		.amdhsa_dx10_clamp 1
		.amdhsa_ieee_mode 1
		.amdhsa_fp16_overflow 0
		.amdhsa_workgroup_processor_mode 1
		.amdhsa_memory_ordered 1
		.amdhsa_forward_progress 1
		.amdhsa_shared_vgpr_count 0
		.amdhsa_exception_fp_ieee_invalid_op 0
		.amdhsa_exception_fp_denorm_src 0
		.amdhsa_exception_fp_ieee_div_zero 0
		.amdhsa_exception_fp_ieee_overflow 0
		.amdhsa_exception_fp_ieee_underflow 0
		.amdhsa_exception_fp_ieee_inexact 0
		.amdhsa_exception_int_div_zero 0
	.end_amdhsa_kernel
	.section	.text._ZL25flash_attn_mask_to_KV_maxILi2EEvPK7__half2Piiii,"axG",@progbits,_ZL25flash_attn_mask_to_KV_maxILi2EEvPK7__half2Piiii,comdat
.Lfunc_end10:
	.size	_ZL25flash_attn_mask_to_KV_maxILi2EEvPK7__half2Piiii, .Lfunc_end10-_ZL25flash_attn_mask_to_KV_maxILi2EEvPK7__half2Piiii
                                        ; -- End function
	.set _ZL25flash_attn_mask_to_KV_maxILi2EEvPK7__half2Piiii.num_vgpr, 8
	.set _ZL25flash_attn_mask_to_KV_maxILi2EEvPK7__half2Piiii.num_agpr, 0
	.set _ZL25flash_attn_mask_to_KV_maxILi2EEvPK7__half2Piiii.numbered_sgpr, 16
	.set _ZL25flash_attn_mask_to_KV_maxILi2EEvPK7__half2Piiii.num_named_barrier, 0
	.set _ZL25flash_attn_mask_to_KV_maxILi2EEvPK7__half2Piiii.private_seg_size, 0
	.set _ZL25flash_attn_mask_to_KV_maxILi2EEvPK7__half2Piiii.uses_vcc, 1
	.set _ZL25flash_attn_mask_to_KV_maxILi2EEvPK7__half2Piiii.uses_flat_scratch, 0
	.set _ZL25flash_attn_mask_to_KV_maxILi2EEvPK7__half2Piiii.has_dyn_sized_stack, 0
	.set _ZL25flash_attn_mask_to_KV_maxILi2EEvPK7__half2Piiii.has_recursion, 0
	.set _ZL25flash_attn_mask_to_KV_maxILi2EEvPK7__half2Piiii.has_indirect_call, 0
	.section	.AMDGPU.csdata,"",@progbits
; Kernel info:
; codeLenInByte = 500
; TotalNumSgprs: 18
; NumVgprs: 8
; ScratchSize: 0
; MemoryBound: 0
; FloatMode: 240
; IeeeMode: 1
; LDSByteSize: 128 bytes/workgroup (compile time only)
; SGPRBlocks: 0
; VGPRBlocks: 0
; NumSGPRsForWavesPerEU: 18
; NumVGPRsForWavesPerEU: 8
; Occupancy: 16
; WaveLimiterHint : 0
; COMPUTE_PGM_RSRC2:SCRATCH_EN: 0
; COMPUTE_PGM_RSRC2:USER_SGPR: 6
; COMPUTE_PGM_RSRC2:TRAP_HANDLER: 0
; COMPUTE_PGM_RSRC2:TGID_X_EN: 1
; COMPUTE_PGM_RSRC2:TGID_Y_EN: 1
; COMPUTE_PGM_RSRC2:TGID_Z_EN: 0
; COMPUTE_PGM_RSRC2:TIDIG_COMP_CNT: 0
	.section	.text._ZL33flash_attn_stream_k_fixup_uniformILi64ELi2ELi1EEvPfPK15HIP_vector_typeIfLj2EEiiiiiiS1_IjLj3EES5_S5_,"axG",@progbits,_ZL33flash_attn_stream_k_fixup_uniformILi64ELi2ELi1EEvPfPK15HIP_vector_typeIfLj2EEiiiiiiS1_IjLj3EES5_S5_,comdat
	.globl	_ZL33flash_attn_stream_k_fixup_uniformILi64ELi2ELi1EEvPfPK15HIP_vector_typeIfLj2EEiiiiiiS1_IjLj3EES5_S5_ ; -- Begin function _ZL33flash_attn_stream_k_fixup_uniformILi64ELi2ELi1EEvPfPK15HIP_vector_typeIfLj2EEiiiiiiS1_IjLj3EES5_S5_
	.p2align	8
	.type	_ZL33flash_attn_stream_k_fixup_uniformILi64ELi2ELi1EEvPfPK15HIP_vector_typeIfLj2EEiiiiiiS1_IjLj3EES5_S5_,@function
_ZL33flash_attn_stream_k_fixup_uniformILi64ELi2ELi1EEvPfPK15HIP_vector_typeIfLj2EEiiiiiiS1_IjLj3EES5_S5_: ; @_ZL33flash_attn_stream_k_fixup_uniformILi64ELi2ELi1EEvPfPK15HIP_vector_typeIfLj2EEiiiiiiS1_IjLj3EES5_S5_
; %bb.0:
	s_clause 0x2
	s_load_dwordx8 s[12:19], s[4:5], 0x1c
	s_load_dwordx4 s[20:23], s[4:5], 0x3c
	s_load_dwordx2 s[10:11], s[4:5], 0x10
	s_waitcnt lgkmcnt(0)
	s_mul_hi_u32 s0, s15, s6
	s_add_i32 s0, s6, s0
	s_lshr_b32 s0, s0, s16
	s_mul_i32 s1, s0, s17
	s_sub_i32 s2, s6, s1
	s_mul_hi_u32 s1, s2, s18
	s_add_i32 s1, s2, s1
	s_lshr_b32 s1, s1, s19
	s_mul_i32 s3, s1, s20
	s_sub_i32 s2, s2, s3
	;; [unrolled: 5-line block ×3, first 2 shown]
	s_lshl_b32 s2, s15, 1
	s_add_i32 s2, s2, s7
	s_cmp_lt_i32 s2, s10
	s_cselect_b32 s2, -1, 0
	s_add_i32 s3, s9, s8
	s_cmp_lt_i32 s3, s13
	s_cselect_b32 s3, -1, 0
	s_and_b32 s2, s2, s3
	s_andn2_b32 vcc_lo, exec_lo, s2
	s_cbranch_vccnz .LBB11_6
; %bb.1:
	s_mul_i32 s0, s0, s10
	s_mul_i32 s10, s1, s13
	s_add_i32 s0, s0, s7
	s_mul_i32 s0, s0, s11
	s_add_i32 s13, s0, s8
	s_load_dwordx4 s[0:3], s[4:5], 0x0
	s_add_i32 s4, s13, s10
	s_mul_i32 s5, s11, s15
	s_add_i32 s4, s4, s9
	s_lshl_b32 s5, s5, 7
	s_lshl_b32 s4, s4, 6
	s_add_i32 s8, s7, s8
	s_add_i32 s5, s5, s4
	s_mul_i32 s4, s14, s6
	v_or_b32_e32 v1, s5, v0
	s_add_i32 s9, s4, s14
	v_ashrrev_i32_e32 v2, 31, v1
	v_lshlrev_b64 v[1:2], 2, v[1:2]
	s_waitcnt lgkmcnt(0)
	v_add_co_u32 v1, vcc_lo, s0, v1
	v_add_co_ci_u32_e64 v2, null, s1, v2, vcc_lo
	s_lshl_b32 s0, s9, 1
	s_add_i32 s0, s8, s0
	global_load_dword v5, v[1:2], off
	s_add_i32 s0, s0, -2
	s_ashr_i32 s1, s0, 31
	s_lshl_b64 s[0:1], s[0:1], 3
	s_add_u32 s0, s2, s0
	s_addc_u32 s1, s3, s1
	s_add_i32 s5, s9, -2
	s_load_dword s10, s[0:1], 0x4
	s_cmp_lt_i32 s5, s4
	s_cbranch_scc1 .LBB11_4
; %bb.2:
	s_lshl_b32 s16, s12, 3
	s_load_dword s11, s[0:1], 0x0
	s_ashr_i32 s17, s16, 31
	s_waitcnt lgkmcnt(0)
	v_mov_b32_e32 v6, s10
	s_lshl_b64 s[0:1], s[16:17], 2
	s_add_u32 s5, s2, s0
	s_addc_u32 s7, s3, s1
	s_add_i32 s6, s6, 1
	s_lshl_b32 s1, s8, 6
	s_mul_i32 s0, s14, s6
	s_lshl_b32 s6, s0, 7
	s_lshl_b32 s0, s0, 1
	s_add_i32 s1, s1, s6
	s_add_i32 s0, s8, s0
	v_or_b32_e32 v0, s1, v0
	s_lshl_b32 s1, s12, 1
	s_add_i32 s6, s9, -1
	s_add_i32 s0, s0, s1
	v_add_nc_u32_e32 v3, 0xffffff00, v0
	v_mov_b32_e32 v0, s11
	s_add_i32 s0, s0, -4
.LBB11_3:                               ; =>This Inner Loop Header: Depth=1
	v_ashrrev_i32_e32 v4, 31, v3
	s_ashr_i32 s1, s0, 31
	s_lshl_b64 s[8:9], s[0:1], 3
	s_add_u32 s8, s2, s8
	v_lshlrev_b64 v[7:8], 2, v[3:4]
	s_addc_u32 s9, s3, s9
	v_add_nc_u32_e32 v3, 0xffffff80, v3
	s_add_i32 s6, s6, -1
	s_add_i32 s0, s0, -2
	s_cmp_le_i32 s6, s4
	v_add_co_u32 v7, vcc_lo, s5, v7
	v_add_co_ci_u32_e64 v8, null, s7, v8, vcc_lo
	s_load_dwordx2 s[8:9], s[8:9], 0x0
	global_load_dword v4, v[7:8], off
	v_max_f32_e32 v7, v0, v0
	s_waitcnt lgkmcnt(0)
	v_max_f32_e64 v8, s8, s8
	v_max_f32_e32 v7, v7, v8
	v_sub_f32_e32 v8, s8, v7
	v_sub_f32_e32 v0, v0, v7
	v_mul_f32_e32 v9, 0x3fb8aa3b, v8
	v_mul_f32_e32 v12, 0x3fb8aa3b, v0
	v_cmp_ngt_f32_e32 vcc_lo, 0xc2ce8ed0, v8
	v_fma_f32 v10, 0x3fb8aa3b, v8, -v9
	v_rndne_f32_e32 v11, v9
	v_fma_f32 v13, 0x3fb8aa3b, v0, -v12
	v_rndne_f32_e32 v14, v12
	v_fmac_f32_e32 v10, 0x32a5705f, v8
	v_sub_f32_e32 v9, v9, v11
	v_fmac_f32_e32 v13, 0x32a5705f, v0
	v_cvt_i32_f32_e32 v11, v11
	v_add_f32_e32 v9, v9, v10
	v_sub_f32_e32 v10, v12, v14
	v_exp_f32_e32 v9, v9
	v_add_f32_e32 v10, v10, v13
	v_exp_f32_e32 v10, v10
	v_ldexp_f32 v9, v9, v11
	v_cvt_i32_f32_e32 v11, v14
	v_cndmask_b32_e32 v9, 0, v9, vcc_lo
	v_cmp_nlt_f32_e32 vcc_lo, 0x42b17218, v8
	v_ldexp_f32 v10, v10, v11
	v_mov_b32_e32 v11, v6
	v_cndmask_b32_e32 v9, 0x7f800000, v9, vcc_lo
	v_cmp_ngt_f32_e32 vcc_lo, 0xc2ce8ed0, v0
	v_cndmask_b32_e32 v10, 0, v10, vcc_lo
	v_cmp_le_f32_e32 vcc_lo, 0xc1a00000, v8
	v_cndmask_b32_e32 v8, 0, v9, vcc_lo
	v_cmp_nlt_f32_e32 vcc_lo, 0x42b17218, v0
	s_waitcnt vmcnt(1)
	v_mov_b32_e32 v9, v5
	v_cndmask_b32_e32 v5, 0x7f800000, v10, vcc_lo
	v_mul_f32_e32 v10, s9, v8
	v_cmp_le_f32_e32 vcc_lo, 0xc1a00000, v0
	v_mov_b32_e32 v0, v7
	v_mov_b32_e32 v6, v10
	v_cndmask_b32_e32 v12, 0, v5, vcc_lo
	v_fmac_f32_e32 v6, v11, v12
	s_waitcnt vmcnt(0)
	v_mul_f32_e32 v5, v4, v8
	v_fmac_f32_e32 v5, v9, v12
	s_cbranch_scc0 .LBB11_3
	s_branch .LBB11_5
.LBB11_4:
	s_waitcnt lgkmcnt(0)
	v_mov_b32_e32 v6, s10
.LBB11_5:
	s_waitcnt vmcnt(0)
	v_div_scale_f32 v0, null, v6, v6, v5
	v_rcp_f32_e32 v3, v0
	v_fma_f32 v4, -v0, v3, 1.0
	v_fmac_f32_e32 v3, v4, v3
	v_div_scale_f32 v4, vcc_lo, v5, v6, v5
	v_mul_f32_e32 v7, v4, v3
	v_fma_f32 v8, -v0, v7, v4
	v_fmac_f32_e32 v7, v8, v3
	v_fma_f32 v0, -v0, v7, v4
	v_div_fmas_f32 v0, v0, v3, v7
	v_div_fixup_f32 v0, v0, v6, v5
	global_store_dword v[1:2], v0, off
.LBB11_6:
	s_endpgm
	.section	.rodata,"a",@progbits
	.p2align	6, 0x0
	.amdhsa_kernel _ZL33flash_attn_stream_k_fixup_uniformILi64ELi2ELi1EEvPfPK15HIP_vector_typeIfLj2EEiiiiiiS1_IjLj3EES5_S5_
		.amdhsa_group_segment_fixed_size 0
		.amdhsa_private_segment_fixed_size 0
		.amdhsa_kernarg_size 76
		.amdhsa_user_sgpr_count 6
		.amdhsa_user_sgpr_private_segment_buffer 1
		.amdhsa_user_sgpr_dispatch_ptr 0
		.amdhsa_user_sgpr_queue_ptr 0
		.amdhsa_user_sgpr_kernarg_segment_ptr 1
		.amdhsa_user_sgpr_dispatch_id 0
		.amdhsa_user_sgpr_flat_scratch_init 0
		.amdhsa_user_sgpr_private_segment_size 0
		.amdhsa_wavefront_size32 1
		.amdhsa_uses_dynamic_stack 0
		.amdhsa_system_sgpr_private_segment_wavefront_offset 0
		.amdhsa_system_sgpr_workgroup_id_x 1
		.amdhsa_system_sgpr_workgroup_id_y 1
		.amdhsa_system_sgpr_workgroup_id_z 1
		.amdhsa_system_sgpr_workgroup_info 0
		.amdhsa_system_vgpr_workitem_id 0
		.amdhsa_next_free_vgpr 15
		.amdhsa_next_free_sgpr 24
		.amdhsa_reserve_vcc 1
		.amdhsa_reserve_flat_scratch 0
		.amdhsa_float_round_mode_32 0
		.amdhsa_float_round_mode_16_64 0
		.amdhsa_float_denorm_mode_32 3
		.amdhsa_float_denorm_mode_16_64 3
		.amdhsa_dx10_clamp 1
		.amdhsa_ieee_mode 1
		.amdhsa_fp16_overflow 0
		.amdhsa_workgroup_processor_mode 1
		.amdhsa_memory_ordered 1
		.amdhsa_forward_progress 1
		.amdhsa_shared_vgpr_count 0
		.amdhsa_exception_fp_ieee_invalid_op 0
		.amdhsa_exception_fp_denorm_src 0
		.amdhsa_exception_fp_ieee_div_zero 0
		.amdhsa_exception_fp_ieee_overflow 0
		.amdhsa_exception_fp_ieee_underflow 0
		.amdhsa_exception_fp_ieee_inexact 0
		.amdhsa_exception_int_div_zero 0
	.end_amdhsa_kernel
	.section	.text._ZL33flash_attn_stream_k_fixup_uniformILi64ELi2ELi1EEvPfPK15HIP_vector_typeIfLj2EEiiiiiiS1_IjLj3EES5_S5_,"axG",@progbits,_ZL33flash_attn_stream_k_fixup_uniformILi64ELi2ELi1EEvPfPK15HIP_vector_typeIfLj2EEiiiiiiS1_IjLj3EES5_S5_,comdat
.Lfunc_end11:
	.size	_ZL33flash_attn_stream_k_fixup_uniformILi64ELi2ELi1EEvPfPK15HIP_vector_typeIfLj2EEiiiiiiS1_IjLj3EES5_S5_, .Lfunc_end11-_ZL33flash_attn_stream_k_fixup_uniformILi64ELi2ELi1EEvPfPK15HIP_vector_typeIfLj2EEiiiiiiS1_IjLj3EES5_S5_
                                        ; -- End function
	.set _ZL33flash_attn_stream_k_fixup_uniformILi64ELi2ELi1EEvPfPK15HIP_vector_typeIfLj2EEiiiiiiS1_IjLj3EES5_S5_.num_vgpr, 15
	.set _ZL33flash_attn_stream_k_fixup_uniformILi64ELi2ELi1EEvPfPK15HIP_vector_typeIfLj2EEiiiiiiS1_IjLj3EES5_S5_.num_agpr, 0
	.set _ZL33flash_attn_stream_k_fixup_uniformILi64ELi2ELi1EEvPfPK15HIP_vector_typeIfLj2EEiiiiiiS1_IjLj3EES5_S5_.numbered_sgpr, 24
	.set _ZL33flash_attn_stream_k_fixup_uniformILi64ELi2ELi1EEvPfPK15HIP_vector_typeIfLj2EEiiiiiiS1_IjLj3EES5_S5_.num_named_barrier, 0
	.set _ZL33flash_attn_stream_k_fixup_uniformILi64ELi2ELi1EEvPfPK15HIP_vector_typeIfLj2EEiiiiiiS1_IjLj3EES5_S5_.private_seg_size, 0
	.set _ZL33flash_attn_stream_k_fixup_uniformILi64ELi2ELi1EEvPfPK15HIP_vector_typeIfLj2EEiiiiiiS1_IjLj3EES5_S5_.uses_vcc, 1
	.set _ZL33flash_attn_stream_k_fixup_uniformILi64ELi2ELi1EEvPfPK15HIP_vector_typeIfLj2EEiiiiiiS1_IjLj3EES5_S5_.uses_flat_scratch, 0
	.set _ZL33flash_attn_stream_k_fixup_uniformILi64ELi2ELi1EEvPfPK15HIP_vector_typeIfLj2EEiiiiiiS1_IjLj3EES5_S5_.has_dyn_sized_stack, 0
	.set _ZL33flash_attn_stream_k_fixup_uniformILi64ELi2ELi1EEvPfPK15HIP_vector_typeIfLj2EEiiiiiiS1_IjLj3EES5_S5_.has_recursion, 0
	.set _ZL33flash_attn_stream_k_fixup_uniformILi64ELi2ELi1EEvPfPK15HIP_vector_typeIfLj2EEiiiiiiS1_IjLj3EES5_S5_.has_indirect_call, 0
	.section	.AMDGPU.csdata,"",@progbits
; Kernel info:
; codeLenInByte = 828
; TotalNumSgprs: 26
; NumVgprs: 15
; ScratchSize: 0
; MemoryBound: 0
; FloatMode: 240
; IeeeMode: 1
; LDSByteSize: 0 bytes/workgroup (compile time only)
; SGPRBlocks: 0
; VGPRBlocks: 1
; NumSGPRsForWavesPerEU: 26
; NumVGPRsForWavesPerEU: 15
; Occupancy: 16
; WaveLimiterHint : 0
; COMPUTE_PGM_RSRC2:SCRATCH_EN: 0
; COMPUTE_PGM_RSRC2:USER_SGPR: 6
; COMPUTE_PGM_RSRC2:TRAP_HANDLER: 0
; COMPUTE_PGM_RSRC2:TGID_X_EN: 1
; COMPUTE_PGM_RSRC2:TGID_Y_EN: 1
; COMPUTE_PGM_RSRC2:TGID_Z_EN: 1
; COMPUTE_PGM_RSRC2:TIDIG_COMP_CNT: 0
	.section	.text._ZL33flash_attn_stream_k_fixup_generalILi64ELi2ELi1EEvPfPK15HIP_vector_typeIfLj2EEiiiiS1_IjLj3EES5_S5_S5_,"axG",@progbits,_ZL33flash_attn_stream_k_fixup_generalILi64ELi2ELi1EEvPfPK15HIP_vector_typeIfLj2EEiiiiS1_IjLj3EES5_S5_S5_,comdat
	.globl	_ZL33flash_attn_stream_k_fixup_generalILi64ELi2ELi1EEvPfPK15HIP_vector_typeIfLj2EEiiiiS1_IjLj3EES5_S5_S5_ ; -- Begin function _ZL33flash_attn_stream_k_fixup_generalILi64ELi2ELi1EEvPfPK15HIP_vector_typeIfLj2EEiiiiS1_IjLj3EES5_S5_S5_
	.p2align	8
	.type	_ZL33flash_attn_stream_k_fixup_generalILi64ELi2ELi1EEvPfPK15HIP_vector_typeIfLj2EEiiiiS1_IjLj3EES5_S5_S5_,@function
_ZL33flash_attn_stream_k_fixup_generalILi64ELi2ELi1EEvPfPK15HIP_vector_typeIfLj2EEiiiiS1_IjLj3EES5_S5_S5_: ; @_ZL33flash_attn_stream_k_fixup_generalILi64ELi2ELi1EEvPfPK15HIP_vector_typeIfLj2EEiiiiS1_IjLj3EES5_S5_S5_
; %bb.0:
	s_clause 0x1
	s_load_dwordx4 s[0:3], s[4:5], 0x10
	s_load_dword s9, s[4:5], 0x50
	s_mov_b32 s16, 0
	s_waitcnt lgkmcnt(0)
	s_mul_hi_i32 s17, s3, s6
	s_mul_i32 s18, s3, s6
	s_cmp_lg_u64 s[16:17], 0
	s_cbranch_scc0 .LBB12_21
; %bb.1:
	s_add_u32 s10, s9, 0
	s_addc_u32 s11, 0, 0
	s_xor_b64 s[10:11], s[10:11], 0
	v_cvt_f32_u32_e32 v1, s10
	v_cvt_f32_u32_e32 v2, s11
	s_sub_u32 s14, 0, s10
	s_subb_u32 s15, 0, s11
	v_fmamk_f32 v1, v2, 0x4f800000, v1
	v_rcp_f32_e32 v1, v1
	v_mul_f32_e32 v1, 0x5f7ffffc, v1
	v_mul_f32_e32 v2, 0x2f800000, v1
	v_trunc_f32_e32 v2, v2
	v_fmamk_f32 v1, v2, 0xcf800000, v1
	v_cvt_u32_f32_e32 v2, v2
	v_cvt_u32_f32_e32 v1, v1
	v_readfirstlane_b32 s12, v2
	v_readfirstlane_b32 s13, v1
	s_mul_i32 s19, s14, s12
	s_mul_hi_u32 s21, s14, s13
	s_mul_i32 s20, s15, s13
	s_add_i32 s19, s21, s19
	s_mul_i32 s22, s14, s13
	s_add_i32 s19, s19, s20
	s_mul_hi_u32 s21, s13, s22
	s_mul_i32 s24, s13, s19
	s_mul_hi_u32 s23, s12, s22
	s_mul_i32 s20, s12, s22
	s_mul_hi_u32 s22, s13, s19
	s_add_u32 s21, s21, s24
	s_addc_u32 s22, 0, s22
	s_mul_hi_u32 s25, s12, s19
	s_add_u32 s20, s21, s20
	s_mul_i32 s19, s12, s19
	s_addc_u32 s20, s22, s23
	s_addc_u32 s21, s25, 0
	s_add_u32 s19, s20, s19
	s_addc_u32 s20, 0, s21
	s_add_u32 s13, s13, s19
	s_cselect_b32 s19, -1, 0
	s_mul_hi_u32 s21, s14, s13
	s_cmp_lg_u32 s19, 0
	s_mul_i32 s19, s14, s13
	s_addc_u32 s12, s12, s20
	s_mul_i32 s15, s15, s13
	s_mul_i32 s14, s14, s12
	s_mul_hi_u32 s20, s13, s19
	s_add_i32 s14, s21, s14
	s_mul_hi_u32 s21, s12, s19
	s_add_i32 s14, s14, s15
	s_mul_i32 s15, s12, s19
	s_mul_i32 s23, s13, s14
	s_mul_hi_u32 s22, s13, s14
	s_add_u32 s20, s20, s23
	s_addc_u32 s22, 0, s22
	s_mul_hi_u32 s19, s12, s14
	s_add_u32 s15, s20, s15
	s_mul_i32 s14, s12, s14
	s_addc_u32 s15, s22, s21
	s_addc_u32 s19, s19, 0
	s_add_u32 s14, s15, s14
	s_addc_u32 s15, 0, s19
	s_add_u32 s19, s13, s14
	s_cselect_b32 s13, -1, 0
	s_cmp_lg_u32 s13, 0
	s_addc_u32 s20, s12, s15
	s_ashr_i32 s12, s17, 31
	s_add_u32 s14, s18, s12
	s_mov_b32 s13, s12
	s_addc_u32 s15, s17, s12
	s_xor_b64 s[14:15], s[14:15], s[12:13]
	s_mul_i32 s21, s14, s20
	s_mul_hi_u32 s22, s14, s19
	s_mul_hi_u32 s17, s14, s20
	s_mul_hi_u32 s24, s15, s19
	s_mul_i32 s19, s15, s19
	s_add_u32 s21, s22, s21
	s_addc_u32 s17, 0, s17
	s_mul_hi_u32 s23, s15, s20
	s_add_u32 s19, s21, s19
	s_mul_i32 s20, s15, s20
	s_addc_u32 s17, s17, s24
	s_addc_u32 s19, s23, 0
	s_add_u32 s17, s17, s20
	s_addc_u32 s19, 0, s19
	s_mul_hi_u32 s20, s10, s17
	s_mul_i32 s21, s10, s19
	s_mul_i32 s22, s11, s17
	s_add_i32 s20, s20, s21
	s_mul_i32 s21, s10, s17
	s_add_i32 s20, s20, s22
	s_sub_i32 s22, s15, s20
	s_sub_u32 s14, s14, s21
	s_cselect_b32 s21, -1, 0
	s_cmp_lg_u32 s21, 0
	s_subb_u32 s22, s22, s11
	s_sub_u32 s23, s14, s10
	s_cselect_b32 s24, -1, 0
	s_cmp_lg_u32 s24, 0
	s_subb_u32 s22, s22, 0
	s_cmp_ge_u32 s22, s11
	s_cselect_b32 s24, -1, 0
	s_cmp_ge_u32 s23, s10
	s_cselect_b32 s23, -1, 0
	s_cmp_eq_u32 s22, s11
	s_cselect_b32 s22, s23, s24
	s_add_u32 s23, s17, 1
	s_addc_u32 s24, s19, 0
	s_add_u32 s25, s17, 2
	s_addc_u32 s26, s19, 0
	s_cmp_lg_u32 s22, 0
	s_cselect_b32 s22, s25, s23
	s_cselect_b32 s23, s26, s24
	s_cmp_lg_u32 s21, 0
	s_subb_u32 s15, s15, s20
	s_cmp_ge_u32 s15, s11
	s_cselect_b32 s20, -1, 0
	s_cmp_ge_u32 s14, s10
	s_cselect_b32 s10, -1, 0
	s_cmp_eq_u32 s15, s11
	s_cselect_b32 s10, s10, s20
	s_cmp_lg_u32 s10, 0
	s_cselect_b32 s11, s23, s19
	s_cselect_b32 s10, s22, s17
	s_xor_b64 s[12:13], s[12:13], 0
	s_xor_b64 s[10:11], s[10:11], s[12:13]
	s_sub_u32 s10, s10, s12
	s_load_dwordx4 s[12:15], s[4:5], 0x44
	s_andn2_b32 vcc_lo, exec_lo, s16
	s_cbranch_vccnz .LBB12_3
.LBB12_2:
	v_cvt_f32_u32_e32 v1, s9
	s_sub_i32 s11, 0, s9
	v_rcp_iflag_f32_e32 v1, v1
	v_mul_f32_e32 v1, 0x4f7ffffe, v1
	v_cvt_u32_f32_e32 v1, v1
	v_readfirstlane_b32 s10, v1
	s_mul_i32 s11, s11, s10
	s_mul_hi_u32 s11, s10, s11
	s_add_i32 s10, s10, s11
	s_mul_hi_u32 s10, s18, s10
	s_mul_i32 s11, s10, s9
	s_waitcnt lgkmcnt(0)
	s_add_i32 s15, s10, 1
	s_sub_i32 s11, s18, s11
	s_sub_i32 s16, s11, s9
	s_cmp_ge_u32 s11, s9
	s_cselect_b32 s10, s15, s10
	s_cselect_b32 s11, s16, s11
	s_add_i32 s15, s10, 1
	s_cmp_ge_u32 s11, s9
	s_cselect_b32 s10, s15, s10
.LBB12_3:
	s_add_i32 s11, s6, 1
	s_mov_b32 s16, 0
	s_mul_hi_i32 s17, s3, s11
	s_mul_i32 s11, s3, s11
	s_cmp_lg_u64 s[16:17], 0
	s_cbranch_scc0 .LBB12_22
; %bb.4:
	s_add_u32 s18, s9, 0
	s_addc_u32 s19, 0, 0
	s_xor_b64 s[18:19], s[18:19], 0
	v_cvt_f32_u32_e32 v1, s18
	v_cvt_f32_u32_e32 v2, s19
	s_sub_u32 s21, 0, s18
	s_subb_u32 s22, 0, s19
	v_fmamk_f32 v1, v2, 0x4f800000, v1
	v_rcp_f32_e32 v1, v1
	v_mul_f32_e32 v1, 0x5f7ffffc, v1
	v_mul_f32_e32 v2, 0x2f800000, v1
	v_trunc_f32_e32 v2, v2
	v_fmamk_f32 v1, v2, 0xcf800000, v1
	v_cvt_u32_f32_e32 v2, v2
	v_cvt_u32_f32_e32 v1, v1
	s_waitcnt lgkmcnt(0)
	v_readfirstlane_b32 s15, v2
	v_readfirstlane_b32 s20, v1
	s_mul_i32 s23, s21, s15
	s_mul_hi_u32 s25, s21, s20
	s_mul_i32 s24, s22, s20
	s_add_i32 s23, s25, s23
	s_mul_i32 s26, s21, s20
	s_add_i32 s23, s23, s24
	s_mul_hi_u32 s25, s20, s26
	s_mul_i32 s28, s20, s23
	s_mul_hi_u32 s27, s15, s26
	s_mul_i32 s24, s15, s26
	s_mul_hi_u32 s26, s20, s23
	s_add_u32 s25, s25, s28
	s_addc_u32 s26, 0, s26
	s_mul_hi_u32 s29, s15, s23
	s_add_u32 s24, s25, s24
	s_mul_i32 s23, s15, s23
	s_addc_u32 s24, s26, s27
	s_addc_u32 s25, s29, 0
	s_add_u32 s23, s24, s23
	s_addc_u32 s24, 0, s25
	s_add_u32 s20, s20, s23
	s_cselect_b32 s23, -1, 0
	s_mul_hi_u32 s25, s21, s20
	s_cmp_lg_u32 s23, 0
	s_mul_i32 s23, s21, s20
	s_addc_u32 s15, s15, s24
	s_mul_i32 s22, s22, s20
	s_mul_i32 s21, s21, s15
	s_mul_hi_u32 s24, s20, s23
	s_add_i32 s21, s25, s21
	s_mul_hi_u32 s25, s15, s23
	s_add_i32 s21, s21, s22
	s_mul_i32 s22, s15, s23
	s_mul_i32 s27, s20, s21
	s_mul_hi_u32 s26, s20, s21
	s_add_u32 s24, s24, s27
	s_addc_u32 s26, 0, s26
	s_mul_hi_u32 s23, s15, s21
	s_add_u32 s22, s24, s22
	s_mul_i32 s21, s15, s21
	s_addc_u32 s22, s26, s25
	s_addc_u32 s23, s23, 0
	s_add_u32 s21, s22, s21
	s_addc_u32 s22, 0, s23
	s_add_u32 s24, s20, s21
	s_cselect_b32 s20, -1, 0
	s_cmp_lg_u32 s20, 0
	s_addc_u32 s15, s15, s22
	s_ashr_i32 s20, s17, 31
	s_add_u32 s22, s11, s20
	s_mov_b32 s21, s20
	s_addc_u32 s23, s17, s20
	s_xor_b64 s[22:23], s[22:23], s[20:21]
	s_mul_i32 s25, s22, s15
	s_mul_hi_u32 s26, s22, s24
	s_mul_hi_u32 s17, s22, s15
	;; [unrolled: 1-line block ×3, first 2 shown]
	s_mul_i32 s24, s23, s24
	s_add_u32 s25, s26, s25
	s_addc_u32 s17, 0, s17
	s_mul_hi_u32 s27, s23, s15
	s_add_u32 s24, s25, s24
	s_mul_i32 s15, s23, s15
	s_addc_u32 s17, s17, s28
	s_addc_u32 s24, s27, 0
	s_add_u32 s15, s17, s15
	s_addc_u32 s17, 0, s24
	s_mul_hi_u32 s24, s18, s15
	s_mul_i32 s25, s18, s17
	s_mul_i32 s26, s19, s15
	s_add_i32 s24, s24, s25
	s_mul_i32 s25, s18, s15
	s_add_i32 s24, s24, s26
	s_sub_i32 s26, s23, s24
	s_sub_u32 s22, s22, s25
	s_cselect_b32 s25, -1, 0
	s_cmp_lg_u32 s25, 0
	s_subb_u32 s26, s26, s19
	s_sub_u32 s27, s22, s18
	s_cselect_b32 s28, -1, 0
	s_cmp_lg_u32 s28, 0
	s_subb_u32 s26, s26, 0
	s_cmp_ge_u32 s26, s19
	s_cselect_b32 s28, -1, 0
	s_cmp_ge_u32 s27, s18
	s_cselect_b32 s27, -1, 0
	s_cmp_eq_u32 s26, s19
	s_cselect_b32 s26, s27, s28
	s_add_u32 s27, s15, 1
	s_addc_u32 s28, s17, 0
	s_add_u32 s29, s15, 2
	s_addc_u32 s30, s17, 0
	s_cmp_lg_u32 s26, 0
	s_cselect_b32 s26, s29, s27
	s_cselect_b32 s27, s30, s28
	s_cmp_lg_u32 s25, 0
	s_subb_u32 s23, s23, s24
	s_cmp_ge_u32 s23, s19
	s_cselect_b32 s24, -1, 0
	s_cmp_ge_u32 s22, s18
	s_cselect_b32 s18, -1, 0
	s_cmp_eq_u32 s23, s19
	s_cselect_b32 s18, s18, s24
	s_cmp_lg_u32 s18, 0
	s_cselect_b32 s19, s27, s17
	s_cselect_b32 s18, s26, s15
	s_xor_b64 s[20:21], s[20:21], 0
	s_xor_b64 s[18:19], s[18:19], s[20:21]
	s_sub_u32 s18, s18, s20
	s_andn2_b32 vcc_lo, exec_lo, s16
	s_cbranch_vccnz .LBB12_6
.LBB12_5:
	v_cvt_f32_u32_e32 v1, s9
	s_sub_i32 s16, 0, s9
	v_rcp_iflag_f32_e32 v1, v1
	v_mul_f32_e32 v1, 0x4f7ffffe, v1
	v_cvt_u32_f32_e32 v1, v1
	s_waitcnt lgkmcnt(0)
	v_readfirstlane_b32 s15, v1
	s_mul_i32 s16, s16, s15
	s_mul_hi_u32 s16, s15, s16
	s_add_i32 s15, s15, s16
	s_mul_hi_u32 s15, s11, s15
	s_mul_i32 s16, s15, s9
	s_sub_i32 s11, s11, s16
	s_add_i32 s16, s15, 1
	s_sub_i32 s17, s11, s9
	s_cmp_ge_u32 s11, s9
	s_cselect_b32 s15, s16, s15
	s_cselect_b32 s11, s17, s11
	s_add_i32 s16, s15, 1
	s_cmp_ge_u32 s11, s9
	s_cselect_b32 s18, s16, s15
.LBB12_6:
	s_cmp_eq_u32 s10, s18
	s_waitcnt lgkmcnt(0)
	s_mul_hi_u32 s11, s10, s12
	s_cselect_b32 s15, -1, 0
	s_add_i32 s11, s11, s10
	s_lshr_b32 s11, s11, s13
	s_mul_i32 s16, s11, s14
	s_cmp_eq_u32 s16, s10
	s_mul_hi_u32 s16, s18, s12
	s_cselect_b32 s17, -1, 0
	s_add_i32 s16, s16, s18
	s_lshr_b32 s16, s16, s13
	s_cmp_eq_u32 s11, s16
	s_mul_i32 s16, s16, s14
	s_cselect_b32 s19, -1, 0
	s_cmp_lg_u32 s16, s18
	s_cselect_b32 s16, -1, 0
	s_or_b32 s15, s15, s17
	s_and_b32 s16, s19, s16
	s_or_b32 s15, s15, s16
	s_and_b32 vcc_lo, exec_lo, s15
	s_cbranch_vccnz .LBB12_24
; %bb.7:
	s_load_dwordx8 s[20:27], s[4:5], 0x20
	s_waitcnt lgkmcnt(0)
	s_mul_hi_u32 s15, s10, s20
	s_add_i32 s15, s15, s10
	s_lshr_b32 s20, s15, s21
	s_load_dword s15, s[4:5], 0x40
	s_mul_i32 s16, s20, s22
	s_sub_i32 s16, s10, s16
	s_mul_hi_u32 s17, s16, s23
	s_add_i32 s17, s16, s17
	s_lshr_b32 s22, s17, s24
	s_mul_i32 s17, s22, s25
	s_sub_i32 s16, s16, s17
	s_mul_hi_u32 s17, s16, s26
	s_add_i32 s17, s16, s17
	s_lshr_b32 s23, s17, s27
	s_waitcnt lgkmcnt(0)
	s_mul_i32 s15, s23, s15
	s_sub_i32 s15, s16, s15
	s_mul_hi_u32 s16, s15, s12
	s_add_i32 s15, s15, s16
	s_lshr_b32 s24, s15, s13
	s_lshl_b32 s15, s24, 1
	s_add_i32 s15, s15, s7
	s_cmp_lt_i32 s15, s0
	s_cselect_b32 s15, -1, 0
	s_add_i32 s16, s23, s8
	s_cmp_lt_i32 s16, s2
	s_cselect_b32 s16, -1, 0
	s_and_b32 s15, s15, s16
	s_andn2_b32 vcc_lo, exec_lo, s15
	s_cbranch_vccnz .LBB12_24
; %bb.8:
	s_load_dwordx4 s[16:19], s[4:5], 0x0
	s_mov_b32 s4, 0
	s_lshl_b32 s26, s9, 3
	s_mov_b32 s27, s4
	s_add_i32 s15, s7, s8
	s_lshl_b64 s[26:27], s[26:27], 2
	s_mul_i32 s0, s20, s0
	s_mul_i32 s22, s22, s2
	v_cvt_f32_u32_e32 v4, s9
	v_rcp_iflag_f32_e32 v4, v4
	s_waitcnt lgkmcnt(0)
	s_add_u32 s20, s18, s26
	s_addc_u32 s21, s19, s27
	s_add_i32 s0, s0, s7
	v_mul_f32_e32 v4, 0x4f7ffffe, v4
	s_mul_i32 s0, s0, s1
	s_mul_i32 s1, s1, s24
	s_add_i32 s0, s0, s8
	s_lshl_b32 s1, s1, 7
	s_add_i32 s0, s0, s22
	v_cvt_u32_f32_e32 v4, v4
	s_add_i32 s0, s0, s23
	s_lshl_b32 s0, s0, 6
	s_add_i32 s1, s1, s0
	s_lshl_b32 s0, s6, 1
	v_or_b32_e32 v1, s1, v0
	s_add_i32 s0, s0, s15
	v_lshl_or_b32 v0, s15, 6, v0
	s_ashr_i32 s1, s0, 31
	v_ashrrev_i32_e32 v2, 31, v1
	s_lshl_b64 s[0:1], s[0:1], 3
	s_add_u32 s0, s18, s0
	s_addc_u32 s1, s19, s1
	v_lshlrev_b64 v[1:2], 2, v[1:2]
	s_load_dwordx2 s[0:1], s[0:1], 0x0
	s_add_i32 s8, s6, -1
	s_sub_i32 s2, 0, s9
	v_add_co_u32 v1, vcc_lo, s16, v1
	v_add_co_ci_u32_e64 v2, null, s17, v2, vcc_lo
	global_load_dword v3, v[1:2], off
	s_waitcnt lgkmcnt(0)
	v_mov_b32_e32 v5, s1
	v_mov_b32_e32 v6, s0
.LBB12_9:                               ; =>This Inner Loop Header: Depth=1
	s_mul_hi_i32 s5, s8, s3
	s_mul_i32 s6, s8, s3
	s_cmp_lg_u64 s[4:5], 0
	s_mov_b32 s7, -1
                                        ; implicit-def: $sgpr0_sgpr1
	s_cbranch_scc0 .LBB12_11
; %bb.10:                               ;   in Loop: Header=BB12_9 Depth=1
	s_add_u32 s0, s9, 0
	s_addc_u32 s1, 0, 0
	s_xor_b64 s[0:1], s[0:1], 0
	v_cvt_f32_u32_e32 v7, s0
	v_cvt_f32_u32_e32 v8, s1
	s_sub_u32 s17, 0, s0
	s_subb_u32 s22, 0, s1
	v_fmac_f32_e32 v7, 0x4f800000, v8
	v_rcp_f32_e32 v7, v7
	v_mul_f32_e32 v7, 0x5f7ffffc, v7
	v_mul_f32_e32 v8, 0x2f800000, v7
	v_trunc_f32_e32 v8, v8
	v_fmac_f32_e32 v7, 0xcf800000, v8
	v_cvt_u32_f32_e32 v8, v8
	v_cvt_u32_f32_e32 v7, v7
	v_readfirstlane_b32 s7, v8
	v_readfirstlane_b32 s16, v7
	s_mul_i32 s23, s17, s7
	s_mul_hi_u32 s25, s17, s16
	s_mul_i32 s24, s22, s16
	s_add_i32 s23, s25, s23
	s_mul_i32 s26, s17, s16
	s_add_i32 s23, s23, s24
	s_mul_hi_u32 s25, s16, s26
	s_mul_i32 s28, s16, s23
	s_mul_hi_u32 s27, s7, s26
	s_mul_i32 s24, s7, s26
	s_mul_hi_u32 s26, s16, s23
	s_add_u32 s25, s25, s28
	s_addc_u32 s26, 0, s26
	s_mul_hi_u32 s29, s7, s23
	s_add_u32 s24, s25, s24
	s_mul_i32 s23, s7, s23
	s_addc_u32 s24, s26, s27
	s_addc_u32 s25, s29, 0
	s_add_u32 s23, s24, s23
	s_addc_u32 s24, 0, s25
	s_add_u32 s16, s16, s23
	s_cselect_b32 s23, -1, 0
	s_mul_hi_u32 s25, s17, s16
	s_cmp_lg_u32 s23, 0
	s_mul_i32 s23, s17, s16
	s_addc_u32 s7, s7, s24
	s_mul_i32 s22, s22, s16
	s_mul_i32 s17, s17, s7
	s_mul_hi_u32 s24, s16, s23
	s_add_i32 s17, s25, s17
	s_mul_hi_u32 s25, s7, s23
	s_add_i32 s17, s17, s22
	s_mul_i32 s22, s7, s23
	s_mul_i32 s27, s16, s17
	s_mul_hi_u32 s26, s16, s17
	s_add_u32 s24, s24, s27
	s_addc_u32 s26, 0, s26
	s_mul_hi_u32 s23, s7, s17
	s_add_u32 s22, s24, s22
	s_mul_i32 s17, s7, s17
	s_addc_u32 s22, s26, s25
	s_addc_u32 s23, s23, 0
	s_add_u32 s17, s22, s17
	s_addc_u32 s22, 0, s23
	s_add_u32 s24, s16, s17
	s_cselect_b32 s16, -1, 0
	s_cmp_lg_u32 s16, 0
	s_addc_u32 s7, s7, s22
	s_ashr_i32 s16, s5, 31
	s_add_u32 s22, s6, s16
	s_mov_b32 s17, s16
	s_addc_u32 s23, s5, s16
	s_xor_b64 s[22:23], s[22:23], s[16:17]
	s_mul_i32 s25, s22, s7
	s_mul_hi_u32 s26, s22, s24
	s_mul_hi_u32 s5, s22, s7
	;; [unrolled: 1-line block ×3, first 2 shown]
	s_mul_i32 s24, s23, s24
	s_add_u32 s25, s26, s25
	s_addc_u32 s5, 0, s5
	s_mul_hi_u32 s27, s23, s7
	s_add_u32 s24, s25, s24
	s_mul_i32 s7, s23, s7
	s_addc_u32 s5, s5, s28
	s_addc_u32 s24, s27, 0
	s_add_u32 s5, s5, s7
	s_addc_u32 s7, 0, s24
	s_mul_hi_u32 s24, s0, s5
	s_mul_i32 s25, s0, s7
	s_mul_i32 s26, s1, s5
	s_add_i32 s24, s24, s25
	s_mul_i32 s25, s0, s5
	s_add_i32 s24, s24, s26
	s_sub_i32 s26, s23, s24
	s_sub_u32 s22, s22, s25
	s_cselect_b32 s25, -1, 0
	s_cmp_lg_u32 s25, 0
	s_subb_u32 s26, s26, s1
	s_sub_u32 s27, s22, s0
	s_cselect_b32 s28, -1, 0
	s_cmp_lg_u32 s28, 0
	s_subb_u32 s26, s26, 0
	s_cmp_ge_u32 s26, s1
	s_cselect_b32 s28, -1, 0
	s_cmp_ge_u32 s27, s0
	s_cselect_b32 s27, -1, 0
	s_cmp_eq_u32 s26, s1
	s_cselect_b32 s26, s27, s28
	s_add_u32 s27, s5, 1
	s_addc_u32 s28, s7, 0
	s_add_u32 s29, s5, 2
	s_addc_u32 s30, s7, 0
	s_cmp_lg_u32 s26, 0
	s_cselect_b32 s26, s29, s27
	s_cselect_b32 s27, s30, s28
	s_cmp_lg_u32 s25, 0
	s_subb_u32 s23, s23, s24
	s_cmp_ge_u32 s23, s1
	s_cselect_b32 s24, -1, 0
	s_cmp_ge_u32 s22, s0
	s_cselect_b32 s0, -1, 0
	s_cmp_eq_u32 s23, s1
	s_cselect_b32 s0, s0, s24
	s_cmp_lg_u32 s0, 0
	s_cselect_b32 s1, s27, s7
	s_cselect_b32 s0, s26, s5
	s_xor_b64 s[16:17], s[16:17], 0
	s_mov_b32 s7, 0
	s_xor_b64 s[0:1], s[0:1], s[16:17]
	s_sub_u32 s0, s0, s16
.LBB12_11:                              ;   in Loop: Header=BB12_9 Depth=1
	s_andn2_b32 vcc_lo, exec_lo, s7
	s_cbranch_vccnz .LBB12_13
; %bb.12:                               ;   in Loop: Header=BB12_9 Depth=1
	v_readfirstlane_b32 s0, v4
	s_mul_i32 s1, s2, s0
	s_mul_hi_u32 s1, s0, s1
	s_add_i32 s0, s0, s1
	s_mul_hi_u32 s0, s6, s0
	s_mul_i32 s1, s0, s9
	s_add_i32 s5, s0, 1
	s_sub_i32 s1, s6, s1
	s_sub_i32 s6, s1, s9
	s_cmp_ge_u32 s1, s9
	s_cselect_b32 s0, s5, s0
	s_cselect_b32 s1, s6, s1
	s_add_i32 s5, s0, 1
	s_cmp_ge_u32 s1, s9
	s_cselect_b32 s0, s5, s0
.LBB12_13:                              ;   in Loop: Header=BB12_9 Depth=1
	s_cmp_lg_u32 s10, s0
	s_mov_b32 s6, -1
                                        ; implicit-def: $sgpr5
                                        ; implicit-def: $vgpr8
                                        ; implicit-def: $vgpr7
                                        ; implicit-def: $vgpr9
                                        ; implicit-def: $sgpr1
                                        ; implicit-def: $sgpr16
	s_cbranch_scc0 .LBB12_18
; %bb.14:                               ;   in Loop: Header=BB12_9 Depth=1
	s_add_i32 s1, s8, s9
	s_mov_b32 s7, s4
	s_lshl_b32 s1, s1, 1
	s_mov_b32 s16, s10
	s_add_i32 s6, s1, s15
	s_mul_hi_u32 s1, s0, s12
	s_lshl_b64 s[6:7], s[6:7], 3
	s_add_u32 s6, s18, s6
	s_addc_u32 s7, s19, s7
	s_add_i32 s1, s1, s0
	s_lshr_b32 s1, s1, s13
	s_mul_i32 s5, s1, s14
	s_cmp_eq_u32 s5, s0
	s_cselect_b32 s5, -1, 0
	s_cmp_lt_u32 s1, s11
	s_cselect_b32 s1, -1, 0
	s_or_b32 s1, s1, s5
	s_mov_b32 s5, -1
	s_and_b32 vcc_lo, exec_lo, s1
	s_mov_b32 s1, s8
	s_cbranch_vccnz .LBB12_16
; %bb.15:                               ;   in Loop: Header=BB12_9 Depth=1
	s_add_i32 s1, s8, -1
	s_mov_b32 s5, 0
	s_mov_b32 s16, s0
.LBB12_16:                              ;   in Loop: Header=BB12_9 Depth=1
	v_lshl_add_u32 v7, s8, 7, v0
	s_load_dwordx2 s[6:7], s[6:7], 0x0
	v_ashrrev_i32_e32 v8, 31, v7
	v_lshlrev_b64 v[7:8], 2, v[7:8]
	v_add_co_u32 v7, vcc_lo, s20, v7
	v_add_co_ci_u32_e64 v8, null, s21, v8, vcc_lo
	s_waitcnt lgkmcnt(0)
	v_max_f32_e64 v9, s6, s6
	global_load_dword v8, v[7:8], off
	v_max_f32_e32 v7, v6, v6
	v_max_f32_e32 v7, v7, v9
	v_sub_f32_e32 v9, s6, v7
	v_sub_f32_e32 v10, v6, v7
	v_mul_f32_e32 v11, 0x3fb8aa3b, v9
	v_mul_f32_e32 v12, 0x3fb8aa3b, v10
	v_cmp_ngt_f32_e32 vcc_lo, 0xc2ce8ed0, v9
	v_fma_f32 v13, 0x3fb8aa3b, v9, -v11
	v_rndne_f32_e32 v14, v11
	v_fma_f32 v15, 0x3fb8aa3b, v10, -v12
	v_rndne_f32_e32 v16, v12
	v_fmac_f32_e32 v13, 0x32a5705f, v9
	v_sub_f32_e32 v11, v11, v14
	v_fmac_f32_e32 v15, 0x32a5705f, v10
	v_sub_f32_e32 v12, v12, v16
	v_add_f32_e32 v11, v11, v13
	v_cvt_i32_f32_e32 v13, v14
	v_add_f32_e32 v12, v12, v15
	v_cvt_i32_f32_e32 v14, v16
	v_exp_f32_e32 v11, v11
	v_exp_f32_e32 v12, v12
	v_ldexp_f32 v11, v11, v13
	v_ldexp_f32 v12, v12, v14
	v_cndmask_b32_e32 v11, 0, v11, vcc_lo
	v_cmp_ngt_f32_e32 vcc_lo, 0xc2ce8ed0, v10
	v_cndmask_b32_e32 v12, 0, v12, vcc_lo
	v_cmp_nlt_f32_e32 vcc_lo, 0x42b17218, v9
	v_cndmask_b32_e32 v11, 0x7f800000, v11, vcc_lo
	v_cmp_nlt_f32_e32 vcc_lo, 0x42b17218, v10
	v_cndmask_b32_e32 v12, 0x7f800000, v12, vcc_lo
	v_cmp_le_f32_e32 vcc_lo, 0xc1a00000, v9
	v_cndmask_b32_e32 v9, 0, v11, vcc_lo
	v_cmp_le_f32_e32 vcc_lo, 0xc1a00000, v10
	v_cndmask_b32_e32 v10, 0, v12, vcc_lo
	s_waitcnt vmcnt(0)
	v_mul_f32_e32 v8, v8, v9
	v_mul_f32_e32 v9, s7, v9
	v_fmac_f32_e32 v8, v3, v10
	v_fmac_f32_e32 v9, v5, v10
	s_cbranch_execz .LBB12_19
.LBB12_17:                              ;   in Loop: Header=BB12_9 Depth=1
	s_andn2_b32 vcc_lo, exec_lo, s5
	s_cbranch_vccnz .LBB12_20
	s_branch .LBB12_23
.LBB12_18:                              ;   in Loop: Header=BB12_9 Depth=1
	s_andn2_b32 vcc_lo, exec_lo, s6
	s_cbranch_vccnz .LBB12_17
.LBB12_19:                              ;   in Loop: Header=BB12_9 Depth=1
	v_mov_b32_e32 v9, v5
	v_mov_b32_e32 v7, v6
	s_waitcnt vmcnt(0)
	v_mov_b32_e32 v8, v3
	s_add_i32 s1, s8, -1
	s_mov_b32 s16, s10
	s_cbranch_execz .LBB12_23
.LBB12_20:                              ;   in Loop: Header=BB12_9 Depth=1
	v_mov_b32_e32 v5, v9
	v_mov_b32_e32 v6, v7
	s_waitcnt vmcnt(0)
	v_mov_b32_e32 v3, v8
	s_mov_b32 s10, s16
	s_mov_b32 s8, s1
	s_branch .LBB12_9
.LBB12_21:
                                        ; implicit-def: $sgpr10_sgpr11
	s_load_dwordx4 s[12:15], s[4:5], 0x44
	s_branch .LBB12_2
.LBB12_22:
                                        ; implicit-def: $sgpr18_sgpr19
	s_branch .LBB12_5
.LBB12_23:
	v_div_scale_f32 v0, null, v9, v9, v8
	s_waitcnt vmcnt(0)
	v_rcp_f32_e32 v3, v0
	v_fma_f32 v4, -v0, v3, 1.0
	v_fmac_f32_e32 v3, v4, v3
	v_div_scale_f32 v4, vcc_lo, v8, v9, v8
	v_mul_f32_e32 v5, v4, v3
	v_fma_f32 v6, -v0, v5, v4
	v_fmac_f32_e32 v5, v6, v3
	v_fma_f32 v0, -v0, v5, v4
	v_div_fmas_f32 v0, v0, v3, v5
	v_div_fixup_f32 v0, v0, v9, v8
	global_store_dword v[1:2], v0, off
.LBB12_24:
	s_endpgm
	.section	.rodata,"a",@progbits
	.p2align	6, 0x0
	.amdhsa_kernel _ZL33flash_attn_stream_k_fixup_generalILi64ELi2ELi1EEvPfPK15HIP_vector_typeIfLj2EEiiiiS1_IjLj3EES5_S5_S5_
		.amdhsa_group_segment_fixed_size 0
		.amdhsa_private_segment_fixed_size 0
		.amdhsa_kernarg_size 336
		.amdhsa_user_sgpr_count 6
		.amdhsa_user_sgpr_private_segment_buffer 1
		.amdhsa_user_sgpr_dispatch_ptr 0
		.amdhsa_user_sgpr_queue_ptr 0
		.amdhsa_user_sgpr_kernarg_segment_ptr 1
		.amdhsa_user_sgpr_dispatch_id 0
		.amdhsa_user_sgpr_flat_scratch_init 0
		.amdhsa_user_sgpr_private_segment_size 0
		.amdhsa_wavefront_size32 1
		.amdhsa_uses_dynamic_stack 0
		.amdhsa_system_sgpr_private_segment_wavefront_offset 0
		.amdhsa_system_sgpr_workgroup_id_x 1
		.amdhsa_system_sgpr_workgroup_id_y 1
		.amdhsa_system_sgpr_workgroup_id_z 1
		.amdhsa_system_sgpr_workgroup_info 0
		.amdhsa_system_vgpr_workitem_id 0
		.amdhsa_next_free_vgpr 17
		.amdhsa_next_free_sgpr 31
		.amdhsa_reserve_vcc 1
		.amdhsa_reserve_flat_scratch 0
		.amdhsa_float_round_mode_32 0
		.amdhsa_float_round_mode_16_64 0
		.amdhsa_float_denorm_mode_32 3
		.amdhsa_float_denorm_mode_16_64 3
		.amdhsa_dx10_clamp 1
		.amdhsa_ieee_mode 1
		.amdhsa_fp16_overflow 0
		.amdhsa_workgroup_processor_mode 1
		.amdhsa_memory_ordered 1
		.amdhsa_forward_progress 1
		.amdhsa_shared_vgpr_count 0
		.amdhsa_exception_fp_ieee_invalid_op 0
		.amdhsa_exception_fp_denorm_src 0
		.amdhsa_exception_fp_ieee_div_zero 0
		.amdhsa_exception_fp_ieee_overflow 0
		.amdhsa_exception_fp_ieee_underflow 0
		.amdhsa_exception_fp_ieee_inexact 0
		.amdhsa_exception_int_div_zero 0
	.end_amdhsa_kernel
	.section	.text._ZL33flash_attn_stream_k_fixup_generalILi64ELi2ELi1EEvPfPK15HIP_vector_typeIfLj2EEiiiiS1_IjLj3EES5_S5_S5_,"axG",@progbits,_ZL33flash_attn_stream_k_fixup_generalILi64ELi2ELi1EEvPfPK15HIP_vector_typeIfLj2EEiiiiS1_IjLj3EES5_S5_S5_,comdat
.Lfunc_end12:
	.size	_ZL33flash_attn_stream_k_fixup_generalILi64ELi2ELi1EEvPfPK15HIP_vector_typeIfLj2EEiiiiS1_IjLj3EES5_S5_S5_, .Lfunc_end12-_ZL33flash_attn_stream_k_fixup_generalILi64ELi2ELi1EEvPfPK15HIP_vector_typeIfLj2EEiiiiS1_IjLj3EES5_S5_S5_
                                        ; -- End function
	.set _ZL33flash_attn_stream_k_fixup_generalILi64ELi2ELi1EEvPfPK15HIP_vector_typeIfLj2EEiiiiS1_IjLj3EES5_S5_S5_.num_vgpr, 17
	.set _ZL33flash_attn_stream_k_fixup_generalILi64ELi2ELi1EEvPfPK15HIP_vector_typeIfLj2EEiiiiS1_IjLj3EES5_S5_S5_.num_agpr, 0
	.set _ZL33flash_attn_stream_k_fixup_generalILi64ELi2ELi1EEvPfPK15HIP_vector_typeIfLj2EEiiiiS1_IjLj3EES5_S5_S5_.numbered_sgpr, 31
	.set _ZL33flash_attn_stream_k_fixup_generalILi64ELi2ELi1EEvPfPK15HIP_vector_typeIfLj2EEiiiiS1_IjLj3EES5_S5_S5_.num_named_barrier, 0
	.set _ZL33flash_attn_stream_k_fixup_generalILi64ELi2ELi1EEvPfPK15HIP_vector_typeIfLj2EEiiiiS1_IjLj3EES5_S5_S5_.private_seg_size, 0
	.set _ZL33flash_attn_stream_k_fixup_generalILi64ELi2ELi1EEvPfPK15HIP_vector_typeIfLj2EEiiiiS1_IjLj3EES5_S5_S5_.uses_vcc, 1
	.set _ZL33flash_attn_stream_k_fixup_generalILi64ELi2ELi1EEvPfPK15HIP_vector_typeIfLj2EEiiiiS1_IjLj3EES5_S5_S5_.uses_flat_scratch, 0
	.set _ZL33flash_attn_stream_k_fixup_generalILi64ELi2ELi1EEvPfPK15HIP_vector_typeIfLj2EEiiiiS1_IjLj3EES5_S5_S5_.has_dyn_sized_stack, 0
	.set _ZL33flash_attn_stream_k_fixup_generalILi64ELi2ELi1EEvPfPK15HIP_vector_typeIfLj2EEiiiiS1_IjLj3EES5_S5_S5_.has_recursion, 0
	.set _ZL33flash_attn_stream_k_fixup_generalILi64ELi2ELi1EEvPfPK15HIP_vector_typeIfLj2EEiiiiS1_IjLj3EES5_S5_S5_.has_indirect_call, 0
	.section	.AMDGPU.csdata,"",@progbits
; Kernel info:
; codeLenInByte = 2936
; TotalNumSgprs: 33
; NumVgprs: 17
; ScratchSize: 0
; MemoryBound: 0
; FloatMode: 240
; IeeeMode: 1
; LDSByteSize: 0 bytes/workgroup (compile time only)
; SGPRBlocks: 0
; VGPRBlocks: 2
; NumSGPRsForWavesPerEU: 33
; NumVGPRsForWavesPerEU: 17
; Occupancy: 16
; WaveLimiterHint : 0
; COMPUTE_PGM_RSRC2:SCRATCH_EN: 0
; COMPUTE_PGM_RSRC2:USER_SGPR: 6
; COMPUTE_PGM_RSRC2:TRAP_HANDLER: 0
; COMPUTE_PGM_RSRC2:TGID_X_EN: 1
; COMPUTE_PGM_RSRC2:TGID_Y_EN: 1
; COMPUTE_PGM_RSRC2:TGID_Z_EN: 1
; COMPUTE_PGM_RSRC2:TIDIG_COMP_CNT: 0
	.section	.text._ZL18flash_attn_ext_vecILi64ELi2EL9ggml_type7ELS0_8ELb1EEvPKcS2_S2_S2_S2_PKiPfP15HIP_vector_typeIfLj2EEffffjfiS6_IjLj3EEiiiiiiiiiiiliiliiiiil,"axG",@progbits,_ZL18flash_attn_ext_vecILi64ELi2EL9ggml_type7ELS0_8ELb1EEvPKcS2_S2_S2_S2_PKiPfP15HIP_vector_typeIfLj2EEffffjfiS6_IjLj3EEiiiiiiiiiiiliiliiiiil,comdat
	.globl	_ZL18flash_attn_ext_vecILi64ELi2EL9ggml_type7ELS0_8ELb1EEvPKcS2_S2_S2_S2_PKiPfP15HIP_vector_typeIfLj2EEffffjfiS6_IjLj3EEiiiiiiiiiiiliiliiiiil ; -- Begin function _ZL18flash_attn_ext_vecILi64ELi2EL9ggml_type7ELS0_8ELb1EEvPKcS2_S2_S2_S2_PKiPfP15HIP_vector_typeIfLj2EEffffjfiS6_IjLj3EEiiiiiiiiiiiliiliiiiil
	.p2align	8
	.type	_ZL18flash_attn_ext_vecILi64ELi2EL9ggml_type7ELS0_8ELb1EEvPKcS2_S2_S2_S2_PKiPfP15HIP_vector_typeIfLj2EEffffjfiS6_IjLj3EEiiiiiiiiiiiliiliiiiil,@function
_ZL18flash_attn_ext_vecILi64ELi2EL9ggml_type7ELS0_8ELb1EEvPKcS2_S2_S2_S2_PKiPfP15HIP_vector_typeIfLj2EEffffjfiS6_IjLj3EEiiiiiiiiiiiliiliiiiil: ; @_ZL18flash_attn_ext_vecILi64ELi2EL9ggml_type7ELS0_8ELb1EEvPKcS2_S2_S2_S2_PKiPfP15HIP_vector_typeIfLj2EEffffjfiS6_IjLj3EEiiiiiiiiiiiliiliiiiil
; %bb.0:
	s_add_u32 s0, s0, s7
	s_addc_u32 s1, s1, 0
	s_add_u32 s8, s4, 0xd0
	s_addc_u32 s9, s5, 0
	s_getpc_b64 s[4:5]
	s_add_u32 s4, s4, _ZL14no_device_codePKciS0_iS0_@rel32@lo+4
	s_addc_u32 s5, s5, _ZL14no_device_codePKciS0_iS0_@rel32@hi+12
	s_mov_b32 s32, 0
	s_swappc_b64 s[30:31], s[4:5]
	.section	.rodata,"a",@progbits
	.p2align	6, 0x0
	.amdhsa_kernel _ZL18flash_attn_ext_vecILi64ELi2EL9ggml_type7ELS0_8ELb1EEvPKcS2_S2_S2_S2_PKiPfP15HIP_vector_typeIfLj2EEffffjfiS6_IjLj3EEiiiiiiiiiiiliiliiiiil
		.amdhsa_group_segment_fixed_size 0
		.amdhsa_private_segment_fixed_size 16
		.amdhsa_kernarg_size 464
		.amdhsa_user_sgpr_count 6
		.amdhsa_user_sgpr_private_segment_buffer 1
		.amdhsa_user_sgpr_dispatch_ptr 0
		.amdhsa_user_sgpr_queue_ptr 0
		.amdhsa_user_sgpr_kernarg_segment_ptr 1
		.amdhsa_user_sgpr_dispatch_id 0
		.amdhsa_user_sgpr_flat_scratch_init 0
		.amdhsa_user_sgpr_private_segment_size 0
		.amdhsa_wavefront_size32 1
		.amdhsa_uses_dynamic_stack 0
		.amdhsa_system_sgpr_private_segment_wavefront_offset 1
		.amdhsa_system_sgpr_workgroup_id_x 1
		.amdhsa_system_sgpr_workgroup_id_y 0
		.amdhsa_system_sgpr_workgroup_id_z 0
		.amdhsa_system_sgpr_workgroup_info 0
		.amdhsa_system_vgpr_workitem_id 0
		.amdhsa_next_free_vgpr 40
		.amdhsa_next_free_sgpr 34
		.amdhsa_reserve_vcc 1
		.amdhsa_reserve_flat_scratch 0
		.amdhsa_float_round_mode_32 0
		.amdhsa_float_round_mode_16_64 0
		.amdhsa_float_denorm_mode_32 3
		.amdhsa_float_denorm_mode_16_64 3
		.amdhsa_dx10_clamp 1
		.amdhsa_ieee_mode 1
		.amdhsa_fp16_overflow 0
		.amdhsa_workgroup_processor_mode 1
		.amdhsa_memory_ordered 1
		.amdhsa_forward_progress 1
		.amdhsa_shared_vgpr_count 0
		.amdhsa_exception_fp_ieee_invalid_op 0
		.amdhsa_exception_fp_denorm_src 0
		.amdhsa_exception_fp_ieee_div_zero 0
		.amdhsa_exception_fp_ieee_overflow 0
		.amdhsa_exception_fp_ieee_underflow 0
		.amdhsa_exception_fp_ieee_inexact 0
		.amdhsa_exception_int_div_zero 0
	.end_amdhsa_kernel
	.section	.text._ZL18flash_attn_ext_vecILi64ELi2EL9ggml_type7ELS0_8ELb1EEvPKcS2_S2_S2_S2_PKiPfP15HIP_vector_typeIfLj2EEffffjfiS6_IjLj3EEiiiiiiiiiiiliiliiiiil,"axG",@progbits,_ZL18flash_attn_ext_vecILi64ELi2EL9ggml_type7ELS0_8ELb1EEvPKcS2_S2_S2_S2_PKiPfP15HIP_vector_typeIfLj2EEffffjfiS6_IjLj3EEiiiiiiiiiiiliiliiiiil,comdat
.Lfunc_end13:
	.size	_ZL18flash_attn_ext_vecILi64ELi2EL9ggml_type7ELS0_8ELb1EEvPKcS2_S2_S2_S2_PKiPfP15HIP_vector_typeIfLj2EEffffjfiS6_IjLj3EEiiiiiiiiiiiliiliiiiil, .Lfunc_end13-_ZL18flash_attn_ext_vecILi64ELi2EL9ggml_type7ELS0_8ELb1EEvPKcS2_S2_S2_S2_PKiPfP15HIP_vector_typeIfLj2EEffffjfiS6_IjLj3EEiiiiiiiiiiiliiliiiiil
                                        ; -- End function
	.set _ZL18flash_attn_ext_vecILi64ELi2EL9ggml_type7ELS0_8ELb1EEvPKcS2_S2_S2_S2_PKiPfP15HIP_vector_typeIfLj2EEffffjfiS6_IjLj3EEiiiiiiiiiiiliiliiiiil.num_vgpr, max(0, .L_ZL14no_device_codePKciS0_iS0_.num_vgpr)
	.set _ZL18flash_attn_ext_vecILi64ELi2EL9ggml_type7ELS0_8ELb1EEvPKcS2_S2_S2_S2_PKiPfP15HIP_vector_typeIfLj2EEffffjfiS6_IjLj3EEiiiiiiiiiiiliiliiiiil.num_agpr, max(0, .L_ZL14no_device_codePKciS0_iS0_.num_agpr)
	.set _ZL18flash_attn_ext_vecILi64ELi2EL9ggml_type7ELS0_8ELb1EEvPKcS2_S2_S2_S2_PKiPfP15HIP_vector_typeIfLj2EEffffjfiS6_IjLj3EEiiiiiiiiiiiliiliiiiil.numbered_sgpr, max(33, .L_ZL14no_device_codePKciS0_iS0_.numbered_sgpr)
	.set _ZL18flash_attn_ext_vecILi64ELi2EL9ggml_type7ELS0_8ELb1EEvPKcS2_S2_S2_S2_PKiPfP15HIP_vector_typeIfLj2EEffffjfiS6_IjLj3EEiiiiiiiiiiiliiliiiiil.num_named_barrier, max(0, .L_ZL14no_device_codePKciS0_iS0_.num_named_barrier)
	.set _ZL18flash_attn_ext_vecILi64ELi2EL9ggml_type7ELS0_8ELb1EEvPKcS2_S2_S2_S2_PKiPfP15HIP_vector_typeIfLj2EEffffjfiS6_IjLj3EEiiiiiiiiiiiliiliiiiil.private_seg_size, 0+max(.L_ZL14no_device_codePKciS0_iS0_.private_seg_size)
	.set _ZL18flash_attn_ext_vecILi64ELi2EL9ggml_type7ELS0_8ELb1EEvPKcS2_S2_S2_S2_PKiPfP15HIP_vector_typeIfLj2EEffffjfiS6_IjLj3EEiiiiiiiiiiiliiliiiiil.uses_vcc, or(1, .L_ZL14no_device_codePKciS0_iS0_.uses_vcc)
	.set _ZL18flash_attn_ext_vecILi64ELi2EL9ggml_type7ELS0_8ELb1EEvPKcS2_S2_S2_S2_PKiPfP15HIP_vector_typeIfLj2EEffffjfiS6_IjLj3EEiiiiiiiiiiiliiliiiiil.uses_flat_scratch, or(0, .L_ZL14no_device_codePKciS0_iS0_.uses_flat_scratch)
	.set _ZL18flash_attn_ext_vecILi64ELi2EL9ggml_type7ELS0_8ELb1EEvPKcS2_S2_S2_S2_PKiPfP15HIP_vector_typeIfLj2EEffffjfiS6_IjLj3EEiiiiiiiiiiiliiliiiiil.has_dyn_sized_stack, or(0, .L_ZL14no_device_codePKciS0_iS0_.has_dyn_sized_stack)
	.set _ZL18flash_attn_ext_vecILi64ELi2EL9ggml_type7ELS0_8ELb1EEvPKcS2_S2_S2_S2_PKiPfP15HIP_vector_typeIfLj2EEffffjfiS6_IjLj3EEiiiiiiiiiiiliiliiiiil.has_recursion, or(0, .L_ZL14no_device_codePKciS0_iS0_.has_recursion)
	.set _ZL18flash_attn_ext_vecILi64ELi2EL9ggml_type7ELS0_8ELb1EEvPKcS2_S2_S2_S2_PKiPfP15HIP_vector_typeIfLj2EEffffjfiS6_IjLj3EEiiiiiiiiiiiliiliiiiil.has_indirect_call, or(0, .L_ZL14no_device_codePKciS0_iS0_.has_indirect_call)
	.section	.AMDGPU.csdata,"",@progbits
; Kernel info:
; codeLenInByte = 48
; TotalNumSgprs: 36
; NumVgprs: 40
; ScratchSize: 16
; MemoryBound: 0
; FloatMode: 240
; IeeeMode: 1
; LDSByteSize: 0 bytes/workgroup (compile time only)
; SGPRBlocks: 0
; VGPRBlocks: 4
; NumSGPRsForWavesPerEU: 36
; NumVGPRsForWavesPerEU: 40
; Occupancy: 16
; WaveLimiterHint : 1
; COMPUTE_PGM_RSRC2:SCRATCH_EN: 1
; COMPUTE_PGM_RSRC2:USER_SGPR: 6
; COMPUTE_PGM_RSRC2:TRAP_HANDLER: 0
; COMPUTE_PGM_RSRC2:TGID_X_EN: 1
; COMPUTE_PGM_RSRC2:TGID_Y_EN: 0
; COMPUTE_PGM_RSRC2:TGID_Z_EN: 0
; COMPUTE_PGM_RSRC2:TIDIG_COMP_CNT: 0
	.section	.text._ZL18flash_attn_ext_vecILi128ELi1EL9ggml_type7ELS0_8ELb0EEvPKcS2_S2_S2_S2_PKiPfP15HIP_vector_typeIfLj2EEffffjfiS6_IjLj3EEiiiiiiiiiiiliiliiiiil,"axG",@progbits,_ZL18flash_attn_ext_vecILi128ELi1EL9ggml_type7ELS0_8ELb0EEvPKcS2_S2_S2_S2_PKiPfP15HIP_vector_typeIfLj2EEffffjfiS6_IjLj3EEiiiiiiiiiiiliiliiiiil,comdat
	.globl	_ZL18flash_attn_ext_vecILi128ELi1EL9ggml_type7ELS0_8ELb0EEvPKcS2_S2_S2_S2_PKiPfP15HIP_vector_typeIfLj2EEffffjfiS6_IjLj3EEiiiiiiiiiiiliiliiiiil ; -- Begin function _ZL18flash_attn_ext_vecILi128ELi1EL9ggml_type7ELS0_8ELb0EEvPKcS2_S2_S2_S2_PKiPfP15HIP_vector_typeIfLj2EEffffjfiS6_IjLj3EEiiiiiiiiiiiliiliiiiil
	.p2align	8
	.type	_ZL18flash_attn_ext_vecILi128ELi1EL9ggml_type7ELS0_8ELb0EEvPKcS2_S2_S2_S2_PKiPfP15HIP_vector_typeIfLj2EEffffjfiS6_IjLj3EEiiiiiiiiiiiliiliiiiil,@function
_ZL18flash_attn_ext_vecILi128ELi1EL9ggml_type7ELS0_8ELb0EEvPKcS2_S2_S2_S2_PKiPfP15HIP_vector_typeIfLj2EEffffjfiS6_IjLj3EEiiiiiiiiiiiliiliiiiil: ; @_ZL18flash_attn_ext_vecILi128ELi1EL9ggml_type7ELS0_8ELb0EEvPKcS2_S2_S2_S2_PKiPfP15HIP_vector_typeIfLj2EEffffjfiS6_IjLj3EEiiiiiiiiiiiliiliiiiil
; %bb.0:
	s_clause 0x3
	s_load_dwordx2 s[28:29], s[4:5], 0x64
	s_load_dwordx2 s[34:35], s[4:5], 0x80
	;; [unrolled: 1-line block ×3, first 2 shown]
	s_load_dwordx4 s[24:27], s[4:5], 0x40
	v_mov_b32_e32 v39, 1.0
	s_waitcnt lgkmcnt(0)
	v_cvt_f32_u32_e32 v2, s29
	s_sub_i32 s1, 0, s29
	v_rcp_iflag_f32_e32 v2, v2
	v_mul_f32_e32 v2, 0x4f7ffffe, v2
	v_cvt_u32_f32_e32 v2, v2
	v_readfirstlane_b32 s0, v2
	s_mul_i32 s1, s1, s0
	s_mul_hi_u32 s1, s0, s1
	s_add_i32 s0, s0, s1
	s_mul_hi_u32 s0, s8, s0
	s_mul_i32 s1, s0, s29
	s_add_i32 s2, s0, 1
	s_sub_i32 s1, s8, s1
	s_sub_i32 s3, s1, s29
	s_cmp_ge_u32 s1, s29
	s_cselect_b32 s0, s2, s0
	s_cselect_b32 s1, s3, s1
	s_add_i32 s2, s0, 1
	s_cmp_ge_u32 s1, s29
	s_cselect_b32 s33, s2, s0
	s_abs_i32 s0, s35
	s_abs_i32 s9, s29
	v_cvt_f32_u32_e32 v2, s0
	s_sub_i32 s2, 0, s0
	s_xor_b32 s3, s29, s35
	s_ashr_i32 s3, s3, 31
	v_rcp_iflag_f32_e32 v2, v2
	v_mul_f32_e32 v2, 0x4f7ffffe, v2
	v_cvt_u32_f32_e32 v2, v2
	v_readfirstlane_b32 s1, v2
	s_mul_i32 s2, s2, s1
	s_mul_hi_u32 s2, s1, s2
	s_add_i32 s1, s1, s2
	s_mul_i32 s2, s33, s29
	s_mul_hi_u32 s1, s9, s1
	s_sub_i32 s30, s8, s2
	s_mul_i32 s10, s1, s0
	s_add_i32 s8, s1, 1
	s_sub_i32 s2, s9, s10
	s_sub_i32 s9, s2, s0
	s_cmp_ge_u32 s2, s0
	s_cselect_b32 s1, s8, s1
	s_cselect_b32 s2, s9, s2
	s_add_i32 s8, s1, 1
	s_cmp_ge_u32 s2, s0
	s_cselect_b32 s0, s8, s1
	s_abs_i32 s38, s36
	s_xor_b32 s0, s0, s3
	v_cvt_f32_u32_e32 v2, s38
	s_sub_i32 s41, s0, s3
	s_load_dword s0, s[4:5], 0x50
	s_abs_i32 s39, s41
	v_cmp_le_f32_e64 s1, s25, 0
	v_cvt_f32_u32_e32 v3, s39
	v_rcp_iflag_f32_e32 v2, v2
	s_sub_i32 s2, 0, s39
	s_abs_i32 s40, s30
	s_and_b32 vcc_lo, exec_lo, s1
	v_rcp_iflag_f32_e32 v3, v3
	s_sub_i32 s1, 0, s38
	s_abs_i32 s35, s33
	v_mul_f32_e32 v2, 0x4f7ffffe, v2
	v_mul_f32_e32 v3, 0x4f7ffffe, v3
	v_cvt_u32_f32_e32 v2, v2
	v_cvt_u32_f32_e32 v3, v3
	v_readfirstlane_b32 s3, v2
	v_readfirstlane_b32 s25, v3
	s_mul_i32 s1, s1, s3
	s_mul_hi_u32 s1, s3, s1
	s_mul_i32 s2, s2, s25
	s_add_i32 s3, s3, s1
	s_mul_hi_u32 s2, s25, s2
	s_add_i32 s25, s25, s2
	s_cbranch_vccnz .LBB14_2
; %bb.1:
	s_waitcnt lgkmcnt(0)
	v_sub_co_u32 v3, vcc_lo, s30, s0
	v_mov_b32_e32 v2, s26
	s_add_i32 s0, s30, 1
	v_lshlrev_b32_e32 v3, 1, v3
	v_cndmask_b32_e32 v2, s27, v2, vcc_lo
	v_or_b32_e32 v3, 1, v3
	v_cndmask_b32_e64 v3, v3, s0, vcc_lo
	v_cmp_neq_f32_e32 vcc_lo, 1.0, v2
	s_mov_b32 s0, 0x3e76c4e1
	v_cvt_f32_i32_e32 v3, v3
	v_cndmask_b32_e32 v4, 1.0, v3, vcc_lo
	v_cmp_neq_f32_e32 vcc_lo, 0, v4
	v_cndmask_b32_e32 v5, 1.0, v2, vcc_lo
	v_frexp_mant_f32_e64 v2, |v5|
	v_cmp_eq_f32_e64 s2, 0, v5
	v_cmp_gt_f32_e32 vcc_lo, 0x3f2aaaab, v2
	v_cndmask_b32_e64 v3, 1.0, 2.0, vcc_lo
	v_mul_f32_e32 v2, v2, v3
	v_add_f32_e32 v3, 1.0, v2
	v_add_f32_e32 v7, -1.0, v2
	v_rcp_f32_e32 v6, v3
	v_add_f32_e32 v9, -1.0, v3
	v_sub_f32_e32 v2, v2, v9
	v_mul_f32_e32 v8, v7, v6
	v_mul_f32_e32 v10, v3, v8
	v_fma_f32 v3, v8, v3, -v10
	v_fmac_f32_e32 v3, v8, v2
	v_add_f32_e32 v2, v10, v3
	v_sub_f32_e32 v9, v7, v2
	v_sub_f32_e32 v10, v2, v10
	;; [unrolled: 1-line block ×5, first 2 shown]
	v_add_f32_e32 v2, v3, v2
	v_add_f32_e32 v2, v9, v2
	v_mul_f32_e32 v2, v6, v2
	v_add_f32_e32 v6, v8, v2
	v_sub_f32_e32 v3, v6, v8
	v_mul_f32_e32 v7, v6, v6
	v_sub_f32_e32 v8, v2, v3
	v_fma_f32 v2, v6, v6, -v7
	v_add_f32_e32 v3, v8, v8
	v_fmac_f32_e32 v2, v6, v3
	v_add_f32_e32 v9, v7, v2
	v_fmaak_f32 v3, s0, v9, 0x3e91f4c4
	v_sub_f32_e32 v7, v9, v7
	v_mul_f32_e32 v14, v6, v9
	v_fmaak_f32 v3, v9, v3, 0x3ecccdef
	v_sub_f32_e32 v7, v2, v7
	v_fma_f32 v15, v9, v6, -v14
	v_mul_f32_e32 v10, v9, v3
	v_fmac_f32_e32 v15, v9, v8
	v_ldexp_f32 v8, v8, 1
	v_fma_f32 v11, v9, v3, -v10
	v_fmac_f32_e32 v15, v7, v6
	v_fmac_f32_e32 v11, v7, v3
	v_cvt_f64_f32_e64 v[2:3], |v5|
	v_add_f32_e32 v12, v10, v11
	v_sub_f32_e32 v10, v12, v10
	v_add_f32_e32 v13, 0x3f2aaaaa, v12
	v_sub_f32_e32 v10, v11, v10
	v_add_f32_e32 v11, 0xbf2aaaaa, v13
	v_add_f32_e32 v10, 0x31739010, v10
	v_sub_f32_e32 v11, v12, v11
	v_frexp_exp_i32_f64_e32 v2, v[2:3]
	v_add_f32_e32 v9, v10, v11
	v_add_f32_e32 v10, v14, v15
	;; [unrolled: 1-line block ×3, first 2 shown]
	v_sub_f32_e32 v12, v10, v14
	v_sub_f32_e32 v3, v13, v7
	v_mul_f32_e32 v11, v10, v7
	v_sub_f32_e32 v12, v15, v12
	v_add_f32_e32 v3, v9, v3
	v_fma_f32 v9, v10, v7, -v11
	v_subrev_co_ci_u32_e64 v2, null, 0, v2, vcc_lo
	v_fmac_f32_e32 v9, v10, v3
	v_ldexp_f32 v3, v6, 1
	v_cvt_f32_i32_e32 v2, v2
	v_fmac_f32_e32 v9, v12, v7
	v_add_f32_e32 v6, v11, v9
	v_add_f32_e32 v7, v3, v6
	v_sub_f32_e32 v10, v6, v11
	v_mul_f32_e32 v11, 0x3f317218, v2
	v_sub_f32_e32 v3, v7, v3
	v_sub_f32_e32 v9, v9, v10
	v_fma_f32 v10, 0x3f317218, v2, -v11
	v_sub_f32_e32 v3, v6, v3
	v_add_f32_e32 v6, v8, v9
	v_fmamk_f32 v2, v2, 0xb102e308, v10
	v_add_f32_e32 v3, v6, v3
	v_add_f32_e32 v6, v11, v2
	;; [unrolled: 1-line block ×3, first 2 shown]
	v_sub_f32_e32 v11, v6, v11
	v_add_f32_e32 v9, v6, v8
	v_sub_f32_e32 v7, v8, v7
	v_sub_f32_e32 v2, v2, v11
	;; [unrolled: 1-line block ×6, first 2 shown]
	v_add_f32_e32 v8, v2, v3
	v_sub_f32_e32 v6, v6, v12
	v_add_f32_e32 v6, v7, v6
	v_sub_f32_e32 v7, v8, v2
	;; [unrolled: 2-line block ×3, first 2 shown]
	v_sub_f32_e32 v3, v3, v7
	v_add_f32_e32 v10, v9, v6
	v_sub_f32_e32 v2, v2, v8
	v_sub_f32_e32 v7, v10, v9
	v_add_f32_e32 v2, v3, v2
	v_sub_f32_e32 v3, v6, v7
	v_add_f32_e32 v2, v2, v3
	v_add_f32_e32 v3, v10, v2
	v_sub_f32_e32 v6, v3, v10
	v_mul_f32_e32 v7, v4, v3
	v_sub_f32_e32 v2, v2, v6
	v_fma_f32 v3, v4, v3, -v7
	v_cmp_class_f32_e64 vcc_lo, v7, 0x204
	v_fmac_f32_e32 v3, v4, v2
	v_add_f32_e32 v2, v7, v3
	v_cndmask_b32_e32 v6, v2, v7, vcc_lo
	v_sub_f32_e32 v2, v2, v7
	v_cmp_eq_f32_e32 vcc_lo, 0x42b17218, v6
	v_sub_f32_e32 v2, v3, v2
	v_cndmask_b32_e64 v8, 0, 0x37000000, vcc_lo
	v_cmp_neq_f32_e64 vcc_lo, 0x7f800000, |v6|
	v_sub_f32_e32 v9, v6, v8
	v_cndmask_b32_e32 v2, 0, v2, vcc_lo
	v_trunc_f32_e32 v6, v4
	v_mul_f32_e32 v10, 0x3fb8aa3b, v9
	v_cmp_ngt_f32_e32 vcc_lo, 0xc2ce8ed0, v9
	v_add_f32_e32 v2, v8, v2
	v_fma_f32 v11, 0x3fb8aa3b, v9, -v10
	v_rndne_f32_e32 v12, v10
	v_fmamk_f32 v11, v9, 0x32a5705f, v11
	v_sub_f32_e32 v10, v10, v12
	v_cvt_i32_f32_e32 v7, v12
	v_add_f32_e32 v10, v10, v11
	v_exp_f32_e32 v10, v10
	v_ldexp_f32 v3, v10, v7
	v_mul_f32_e32 v7, 0.5, v4
	v_cndmask_b32_e32 v3, 0, v3, vcc_lo
	v_cmp_nlt_f32_e32 vcc_lo, 0x42b17218, v9
	v_trunc_f32_e32 v10, v7
	v_cndmask_b32_e32 v3, 0x7f800000, v3, vcc_lo
	v_cmp_eq_f32_e32 vcc_lo, v6, v4
	v_cmp_neq_f32_e64 s0, v10, v7
	v_fma_f32 v2, v3, v2, v3
	v_cmp_class_f32_e64 s1, v3, 0x204
	s_and_b32 s0, vcc_lo, s0
	v_cndmask_b32_e64 v6, 1.0, v5, s0
	v_cndmask_b32_e64 v2, v2, v3, s1
	v_cmp_gt_f32_e64 s1, 0, v4
	v_bfi_b32 v2, 0x7fffffff, v2, v6
	s_xor_b32 s1, s1, s2
	v_cndmask_b32_e64 v6, 0, v5, s0
	v_cndmask_b32_e64 v3, 0x7f800000, 0, s1
	v_cmp_class_f32_e64 s0, v5, 0x204
	v_cndmask_b32_e32 v4, 0x7fc00000, v2, vcc_lo
	v_cmp_gt_f32_e32 vcc_lo, 0, v5
	v_bfi_b32 v3, 0x7fffffff, v3, v6
	v_cndmask_b32_e32 v2, v2, v4, vcc_lo
	s_or_b32 vcc_lo, s2, s0
	v_cndmask_b32_e32 v2, v2, v3, vcc_lo
	v_cmp_o_f32_e32 vcc_lo, v5, v5
	v_cndmask_b32_e32 v39, 0x7fc00000, v2, vcc_lo
.LBB14_2:
	s_load_dwordx16 s[8:23], s[4:5], 0x0
	s_waitcnt lgkmcnt(0)
	v_cmp_eq_u32_e64 s0, 0, v1
	v_mbcnt_lo_u32_b32 v38, -1, 0
	s_mul_hi_u32 s42, s40, s25
	s_mul_hi_u32 s36, s35, s3
	s_and_saveexec_b32 s25, s0
	s_cbranch_execz .LBB14_7
; %bb.3:
	s_load_dwordx4 s[44:47], s[4:5], 0x70
	v_lshlrev_b32_e32 v2, 4, v0
	v_xor_b32_e32 v13, 1, v38
	s_waitcnt lgkmcnt(0)
	s_mul_i32 s1, s33, s46
	s_mul_i32 s2, s44, s6
	;; [unrolled: 1-line block ×3, first 2 shown]
	s_add_i32 s1, s1, s2
	s_add_i32 s1, s1, s3
	s_ashr_i32 s3, s1, 31
	s_add_u32 s2, s8, s1
	s_addc_u32 s3, s9, s3
	s_mov_b32 s8, exec_lo
	global_load_dwordx4 v[9:12], v2, s[2:3]
	v_xor_b32_e32 v2, 4, v38
	v_cmp_gt_i32_e32 vcc_lo, 32, v2
	v_cndmask_b32_e32 v2, v38, v2, vcc_lo
	v_lshlrev_b32_e32 v2, 2, v2
	s_waitcnt vmcnt(0)
	v_mul_f32_e32 v4, s24, v9
	v_mul_f32_e32 v6, s24, v10
	;; [unrolled: 1-line block ×4, first 2 shown]
	v_xor_b32_e32 v10, 2, v38
	v_max_f32_e64 v3, |v4|, |v6|
	v_fma_f32 v9, s24, v9, v6
	v_cmp_gt_i32_e32 vcc_lo, 32, v10
	v_max3_f32 v3, v3, |v8|, |v7|
	v_fmac_f32_e32 v9, s24, v11
	v_cndmask_b32_e32 v10, v38, v10, vcc_lo
	v_cmp_gt_i32_e32 vcc_lo, 32, v13
	ds_bpermute_b32 v5, v2, v3
	v_fmac_f32_e32 v9, s24, v12
	v_lshlrev_b32_e32 v10, 2, v10
	v_cndmask_b32_e32 v13, v38, v13, vcc_lo
	ds_bpermute_b32 v2, v2, v9
	v_lshlrev_b32_e32 v13, 2, v13
	s_waitcnt lgkmcnt(1)
	v_max_f32_e32 v5, v5, v5
	v_max_f32_e32 v3, v3, v5
	s_waitcnt lgkmcnt(0)
	v_add_f32_e32 v2, v9, v2
	ds_bpermute_b32 v5, v10, v3
	s_waitcnt lgkmcnt(0)
	v_max_f32_e32 v5, v5, v5
	v_max_f32_e32 v3, v3, v5
	ds_bpermute_b32 v5, v13, v3
	s_waitcnt lgkmcnt(0)
	v_max_f32_e32 v5, v5, v5
	v_max_f32_e32 v11, v3, v5
	ds_bpermute_b32 v5, v10, v2
	v_div_scale_f32 v12, null, 0x42fe0000, 0x42fe0000, v11
	v_div_scale_f32 v9, vcc_lo, v11, 0x42fe0000, v11
	v_rcp_f32_e32 v14, v12
	v_fma_f32 v3, -v12, v14, 1.0
	v_fmac_f32_e32 v14, v3, v14
	s_waitcnt lgkmcnt(0)
	v_add_f32_e32 v3, v2, v5
	v_mul_f32_e32 v10, v9, v14
	ds_bpermute_b32 v5, v13, v3
	v_fma_f32 v15, -v12, v10, v9
	v_fmac_f32_e32 v10, v15, v14
	v_fma_f32 v2, -v12, v10, v9
	v_mov_b32_e32 v9, 0
	v_div_fmas_f32 v2, v2, v14, v10
	v_div_fixup_f32 v2, v2, 0x42fe0000, v11
	v_cmpx_neq_f32_e32 0, v2
	s_cbranch_execz .LBB14_5
; %bb.4:
	v_div_scale_f32 v9, null, v2, v2, v4
	v_div_scale_f32 v10, null, v2, v2, v6
	;; [unrolled: 1-line block ×3, first 2 shown]
	v_rcp_f32_e32 v11, v9
	v_div_scale_f32 v13, null, v2, v2, v7
	v_rcp_f32_e32 v14, v10
	v_rcp_f32_e32 v15, v12
	v_div_scale_f32 v19, vcc_lo, v4, v2, v4
	v_rcp_f32_e32 v16, v13
	v_fma_f32 v17, -v9, v11, 1.0
	v_fma_f32 v18, -v10, v14, 1.0
	;; [unrolled: 1-line block ×3, first 2 shown]
	v_fmac_f32_e32 v11, v17, v11
	v_div_scale_f32 v17, s1, v6, v2, v6
	v_fma_f32 v21, -v13, v16, 1.0
	v_fmac_f32_e32 v14, v18, v14
	v_fmac_f32_e32 v15, v20, v15
	v_div_scale_f32 v18, s2, v8, v2, v8
	v_fmac_f32_e32 v16, v21, v16
	v_mul_f32_e32 v21, v19, v11
	v_mul_f32_e32 v22, v17, v14
	;; [unrolled: 1-line block ×3, first 2 shown]
	v_div_scale_f32 v20, s3, v7, v2, v7
	v_fma_f32 v25, -v9, v21, v19
	v_fma_f32 v26, -v10, v22, v17
	v_fma_f32 v27, -v12, v23, v18
	v_mul_f32_e32 v24, v20, v16
	v_fmac_f32_e32 v21, v25, v11
	v_fmac_f32_e32 v22, v26, v14
	;; [unrolled: 1-line block ×3, first 2 shown]
	v_fma_f32 v28, -v13, v24, v20
	v_fma_f32 v9, -v9, v21, v19
	;; [unrolled: 1-line block ×4, first 2 shown]
	v_fmac_f32_e32 v24, v28, v16
	v_div_fmas_f32 v9, v9, v11, v21
	s_mov_b32 vcc_lo, s1
	v_div_fmas_f32 v10, v10, v14, v22
	s_mov_b32 vcc_lo, s2
	v_div_fixup_f32 v4, v9, v2, v4
	v_div_fmas_f32 v11, v12, v15, v23
	v_fma_f32 v12, -v13, v24, v20
	s_mov_b32 vcc_lo, s3
	v_div_fixup_f32 v6, v10, v2, v6
	v_div_fixup_f32 v8, v11, v2, v8
	v_div_fmas_f32 v11, v12, v16, v24
	v_trunc_f32_e32 v10, v6
	v_trunc_f32_e32 v12, v8
	v_div_fixup_f32 v7, v11, v2, v7
	v_trunc_f32_e32 v11, v4
	v_sub_f32_e32 v14, v6, v10
	v_sub_f32_e32 v9, v8, v12
	v_trunc_f32_e32 v13, v7
	v_sub_f32_e32 v16, v4, v11
	v_cmp_ge_f32_e64 s1, |v9|, 0.5
	v_sub_f32_e32 v15, v7, v13
	v_cndmask_b32_e64 v9, 0, 1.0, s1
	v_cmp_ge_f32_e64 s1, |v14|, 0.5
	v_bfi_b32 v8, 0x7fffffff, v9, v8
	v_cndmask_b32_e64 v9, 0, 1.0, s1
	v_cmp_ge_f32_e64 s1, |v15|, 0.5
	v_add_f32_e32 v8, v12, v8
	v_bfi_b32 v6, 0x7fffffff, v9, v6
	v_cndmask_b32_e64 v14, 0, 1.0, s1
	v_cmp_ge_f32_e64 s1, |v16|, 0.5
	v_mov_b32_e32 v9, 8
	v_cvt_i32_f32_e32 v8, v8
	v_add_f32_e32 v6, v10, v6
	v_bfi_b32 v7, 0x7fffffff, v14, v7
	v_cndmask_b32_e64 v12, 0, 1.0, s1
	v_and_b32_e32 v8, 0xff, v8
	v_cvt_i32_f32_e32 v6, v6
	v_add_f32_e32 v7, v13, v7
	v_bfi_b32 v4, 0x7fffffff, v12, v4
	v_lshlrev_b32_e32 v8, 16, v8
	v_lshlrev_b32_sdwa v6, v9, v6 dst_sel:DWORD dst_unused:UNUSED_PAD src0_sel:DWORD src1_sel:BYTE_0
	v_cvt_i32_f32_e32 v7, v7
	v_add_f32_e32 v4, v11, v4
	v_lshl_or_b32 v7, v7, 24, v8
	v_cvt_i32_f32_e32 v4, v4
	v_and_b32_e32 v4, 0xff, v4
	v_or3_b32 v9, v7, v6, v4
.LBB14_5:
	s_or_b32 exec_lo, exec_lo, s8
	v_and_b32_e32 v4, 7, v0
	v_lshlrev_b32_e32 v6, 2, v0
	v_cmp_eq_u32_e32 vcc_lo, 0, v4
	ds_write_b32 v6, v9
	s_and_b32 exec_lo, exec_lo, vcc_lo
	s_cbranch_execz .LBB14_7
; %bb.6:
	s_waitcnt lgkmcnt(1)
	v_add_f32_e32 v3, v3, v5
	ds_write_b64 v0, v[2:3] offset:128
.LBB14_7:
	s_or_b32 exec_lo, exec_lo, s25
	v_and_b32_e32 v11, 1, v0
	v_mov_b32_e32 v44, 0
	s_waitcnt lgkmcnt(0)
	s_barrier
	buffer_gl0_inv
	v_lshlrev_b32_e32 v43, 2, v11
	s_ashr_i32 s31, s30, 31
	s_ashr_i32 s1, s41, 31
	;; [unrolled: 1-line block ×3, first 2 shown]
	s_cmp_eq_u64 s[18:19], 0
	ds_read2_b32 v[14:15], v43 offset1:2
	ds_read2_b32 v[16:17], v43 offset0:4 offset1:6
	ds_read2_b32 v[18:19], v43 offset0:8 offset1:10
	;; [unrolled: 1-line block ×3, first 2 shown]
	ds_read_b128 v[2:5], v44 offset:128
	ds_read_b128 v[6:9], v44 offset:144
	ds_read2_b32 v[22:23], v43 offset0:16 offset1:18
	ds_read2_b32 v[24:25], v43 offset0:20 offset1:22
	;; [unrolled: 1-line block ×4, first 2 shown]
	s_waitcnt lgkmcnt(0)
	s_barrier
	buffer_gl0_inv
	s_cbranch_scc1 .LBB14_9
; %bb.8:
	s_load_dword s2, s[4:5], 0xd0
	s_mov_b32 s3, 0
	s_waitcnt lgkmcnt(0)
	s_mul_i32 s2, s2, s33
	s_add_i32 s2, s2, s6
	s_lshl_b64 s[2:3], s[2:3], 2
	s_add_u32 s2, s18, s2
	s_addc_u32 s3, s19, s3
	s_load_dword s34, s[2:3], 0x0
.LBB14_9:
	v_lshlrev_b32_e32 v10, 5, v1
	v_lshlrev_b32_e32 v42, 2, v0
	s_lshl_b32 s2, s7, 7
	s_mov_b32 s3, 0
	s_waitcnt lgkmcnt(0)
	s_cmp_ge_i32 s2, s34
	v_add_nc_u32_e32 v40, v10, v0
	v_lshlrev_b32_e32 v41, 1, v40
	s_cbranch_scc1 .LBB14_17
; %bb.10:
	s_clause 0x1
	s_load_dwordx4 s[24:27], s[4:5], 0x98
	s_load_dwordx2 s[18:19], s[4:5], 0x8c
	s_xor_b32 s41, s31, s1
	s_mul_i32 s1, s42, s39
	s_add_i32 s44, s42, 1
	s_sub_i32 s40, s40, s1
	s_mul_i32 s45, s36, s38
	s_sub_i32 s48, s40, s39
	s_mul_i32 s46, s37, s6
	s_clause 0x2
	s_load_dwordx2 s[36:37], s[4:5], 0xa8
	s_load_dwordx2 s[8:9], s[4:5], 0xc8
	s_load_dword s47, s[4:5], 0xd4
	v_and_b32_e32 v12, 0x7e, v0
	v_bfe_u32 v30, v0, 3, 27
	v_cmp_eq_u32_e64 s1, 0, v11
	v_and_b32_e32 v32, 28, v42
	v_add_nc_u32_e32 v55, 31, v10
	v_add_nc_u32_e32 v11, v10, v12
	v_mul_hi_u32_u24_e32 v13, 34, v30
	v_mul_u32_u24_e32 v12, 34, v30
	v_add_nc_u32_e32 v56, 28, v10
	v_add_nc_u32_e32 v59, 27, v10
	s_waitcnt lgkmcnt(0)
	s_mul_hi_u32 s49, s24, s33
	s_mul_i32 s50, s24, s43
	s_mul_i32 s25, s25, s33
	s_add_i32 s49, s49, s50
	v_mul_lo_u32 v33, v10, s26
	s_add_i32 s25, s49, s25
	s_cmp_ge_u32 s40, s39
	v_lshlrev_b32_e32 v31, 1, v11
	s_cselect_b32 s42, s44, s42
	s_cselect_b32 s40, s48, s40
	s_add_i32 s44, s42, 1
	s_cmp_ge_u32 s40, s39
	v_mad_u64_u32 v[35:36], null, s36, s33, v[12:13]
	s_cselect_b32 s39, s44, s42
	s_sub_i32 s42, s35, s45
	s_xor_b32 s39, s39, s41
	v_add_nc_u32_e32 v45, s26, v33
	s_sub_i32 s39, s39, s41
	s_sub_i32 s41, s42, s38
	s_mul_i32 s35, s39, s19
	s_mul_i32 s39, s39, s27
	s_ashr_i32 s27, s35, 31
	s_ashr_i32 s40, s39, 31
	s_cmp_ge_u32 s42, s38
	s_mul_i32 s36, s36, s43
	s_cselect_b32 s19, s41, s42
	v_add_nc_u32_e32 v46, s26, v45
	s_sub_i32 s41, s19, s38
	s_cmp_ge_u32 s19, s38
	v_ashrrev_i32_e32 v37, 31, v33
	s_cselect_b32 s19, s41, s19
	s_ashr_i32 s42, s46, 31
	s_xor_b32 s19, s19, s43
	v_add_nc_u32_e32 v47, s26, v46
	s_sub_i32 s19, s19, s43
	v_ashrrev_i32_e32 v48, 31, v45
	s_ashr_i32 s38, s19, 31
	s_mul_hi_u32 s41, s8, s19
	s_mul_i32 s38, s8, s38
	s_mul_i32 s9, s9, s19
	s_add_i32 s38, s41, s38
	s_mul_i32 s48, s8, s19
	s_add_i32 s9, s38, s9
	s_cmp_lg_u64 s[14:15], 0
	v_add_nc_u32_e32 v34, s26, v47
	s_cselect_b32 s19, -1, 0
	s_lshl_b32 s8, s47, 7
	s_add_u32 s38, s10, s35
	s_addc_u32 s41, s11, s27
	s_lshl_b64 s[44:45], s[2:3], 1
	v_ashrrev_i32_e32 v49, 31, v46
	s_add_u32 s44, s48, s44
	s_addc_u32 s9, s9, s45
	s_add_u32 s14, s14, s46
	s_addc_u32 s15, s15, s42
	;; [unrolled: 2-line block ×3, first 2 shown]
	v_add_co_u32 v12, s14, s14, v31
	s_mul_i32 s15, s37, s33
	v_add_co_ci_u32_e64 v13, null, s9, 0, s14
	v_add3_u32 v36, s36, s15, v36
	v_add_co_u32 v30, vcc_lo, v12, 2
	v_add_co_ci_u32_e64 v31, null, 0, v13, vcc_lo
	v_add_co_u32 v44, vcc_lo, v35, v32
	v_add_co_ci_u32_e64 v51, null, 0, v36, vcc_lo
	;; [unrolled: 2-line block ×6, first 2 shown]
	v_add_nc_u32_e32 v51, s26, v34
	v_add_co_u32 v57, vcc_lo, v35, v45
	v_add_co_ci_u32_e64 v58, null, v36, v48, vcc_lo
	v_add_nc_u32_e32 v52, s26, v51
	v_add_co_u32 v61, vcc_lo, v37, v45
	v_add_co_ci_u32_e64 v62, null, v44, v48, vcc_lo
	v_add_co_u32 v65, vcc_lo, v35, v46
	v_add_co_ci_u32_e64 v66, null, v36, v49, vcc_lo
	v_add_co_u32 v67, vcc_lo, v37, v46
	v_add_nc_u32_e32 v46, 30, v10
	v_add_nc_u32_e32 v45, s26, v52
	v_mul_lo_u32 v55, s26, v55
	v_add_co_ci_u32_e64 v68, null, v44, v49, vcc_lo
	v_add_nc_u32_e32 v49, 29, v10
	v_ashrrev_i32_e32 v50, 31, v47
	v_mul_lo_u32 v46, s26, v46
	v_add_nc_u32_e32 v48, s26, v45
	v_add_co_u32 v69, vcc_lo, v35, v47
	v_mul_lo_u32 v49, s26, v49
	v_ashrrev_i32_e32 v110, 31, v55
	v_add_co_ci_u32_e64 v70, null, v36, v50, vcc_lo
	v_add_co_u32 v71, vcc_lo, v37, v47
	v_add_nc_u32_e32 v53, s26, v48
	v_add_co_ci_u32_e64 v72, null, v44, v50, vcc_lo
	v_add_co_u32 v112, vcc_lo, v37, v55
	v_mul_lo_u32 v47, s26, v56
	v_ashrrev_i32_e32 v63, 31, v46
	v_add_co_ci_u32_e64 v113, null, v44, v110, vcc_lo
	v_add_co_u32 v114, vcc_lo, v35, v55
	v_add_nc_u32_e32 v54, s26, v53
	v_add_nc_u32_e32 v56, 26, v10
	v_add_co_ci_u32_e64 v110, null, v36, v110, vcc_lo
	v_add_co_u32 v115, vcc_lo, v37, v46
	v_mul_lo_u32 v50, s26, v59
	v_ashrrev_i32_e32 v64, 31, v49
	v_add_co_ci_u32_e64 v116, null, v44, v63, vcc_lo
	v_add_co_u32 v117, vcc_lo, v35, v46
	v_add_nc_u32_e32 v76, 25, v10
	v_add_co_ci_u32_e64 v118, null, v36, v63, vcc_lo
	v_add_co_u32 v119, vcc_lo, v37, v49
	v_add_nc_u32_e32 v60, s26, v54
	v_mul_lo_u32 v56, s26, v56
	v_ashrrev_i32_e32 v74, 31, v47
	v_add_co_ci_u32_e64 v120, null, v44, v64, vcc_lo
	v_add_co_u32 v121, vcc_lo, v35, v49
	v_add_nc_u32_e32 v77, 24, v10
	v_add_co_ci_u32_e64 v122, null, v36, v64, vcc_lo
	v_add_co_u32 v123, vcc_lo, v37, v47
	v_ashrrev_i32_e32 v75, 31, v50
	v_mul_lo_u32 v76, s26, v76
	v_add_nc_u32_e32 v59, s26, v60
	v_add_co_ci_u32_e64 v124, null, v44, v74, vcc_lo
	v_add_co_u32 v125, vcc_lo, v35, v47
	v_add_nc_u32_e32 v79, 23, v10
	v_add_co_ci_u32_e64 v126, null, v36, v74, vcc_lo
	v_add_co_u32 v127, vcc_lo, v37, v50
	v_ashrrev_i32_e32 v80, 31, v56
	v_mul_lo_u32 v77, s26, v77
	v_add_co_ci_u32_e64 v128, null, v44, v75, vcc_lo
	v_add_co_u32 v129, vcc_lo, v35, v50
	v_add_nc_u32_e32 v73, s26, v59
	v_add_nc_u32_e32 v82, 22, v10
	v_add_co_ci_u32_e64 v130, null, v36, v75, vcc_lo
	v_add_co_u32 v131, vcc_lo, v37, v56
	v_mul_lo_u32 v79, s26, v79
	v_ashrrev_i32_e32 v88, 31, v76
	v_add_co_ci_u32_e64 v132, null, v44, v80, vcc_lo
	v_add_co_u32 v133, vcc_lo, v35, v56
	v_add_nc_u32_e32 v78, s26, v73
	v_add_nc_u32_e32 v83, 21, v10
	v_add_co_ci_u32_e64 v134, null, v36, v80, vcc_lo
	v_add_co_u32 v135, vcc_lo, v37, v76
	v_mul_lo_u32 v82, s26, v82
	v_ashrrev_i32_e32 v89, 31, v77
	v_add_co_ci_u32_e64 v136, null, v44, v88, vcc_lo
	v_add_co_u32 v137, vcc_lo, v35, v76
	v_add_nc_u32_e32 v84, 20, v10
	v_add_co_ci_u32_e64 v138, null, v36, v88, vcc_lo
	v_add_co_u32 v139, vcc_lo, v37, v77
	v_add_nc_u32_e32 v81, s26, v78
	v_mul_lo_u32 v83, s26, v83
	v_ashrrev_i32_e32 v90, 31, v79
	v_add_co_ci_u32_e64 v140, null, v44, v89, vcc_lo
	v_add_co_u32 v141, vcc_lo, v35, v77
	v_add_nc_u32_e32 v86, 19, v10
	v_add_co_ci_u32_e64 v142, null, v36, v89, vcc_lo
	v_add_co_u32 v143, vcc_lo, v37, v79
	v_mul_lo_u32 v84, s26, v84
	v_ashrrev_i32_e32 v92, 31, v82
	v_add_nc_u32_e32 v85, s26, v81
	v_add_co_ci_u32_e64 v144, null, v44, v90, vcc_lo
	v_add_co_u32 v145, vcc_lo, v35, v79
	v_add_co_ci_u32_e64 v146, null, v36, v90, vcc_lo
	v_add_co_u32 v147, vcc_lo, v37, v82
	v_mul_lo_u32 v86, s26, v86
	v_ashrrev_i32_e32 v93, 31, v83
	v_add_co_ci_u32_e64 v148, null, v44, v92, vcc_lo
	v_add_co_u32 v149, vcc_lo, v35, v82
	v_add_nc_u32_e32 v87, s26, v85
	v_add_co_ci_u32_e64 v150, null, v36, v92, vcc_lo
	v_add_co_u32 v151, vcc_lo, v37, v83
	v_ashrrev_i32_e32 v94, 31, v84
	v_add_co_ci_u32_e64 v152, null, v44, v93, vcc_lo
	v_add_co_u32 v153, vcc_lo, v35, v83
	v_add_nc_u32_e32 v91, s26, v87
	v_add_co_ci_u32_e64 v154, null, v36, v93, vcc_lo
	v_add_co_u32 v155, vcc_lo, v37, v84
	v_ashrrev_i32_e32 v95, 31, v86
	v_add_co_ci_u32_e64 v156, null, v44, v94, vcc_lo
	v_add_co_u32 v157, vcc_lo, v35, v84
	v_add_co_ci_u32_e64 v158, null, v36, v94, vcc_lo
	v_add_co_u32 v159, vcc_lo, v37, v86
	v_ashrrev_i32_e32 v96, 31, v91
	v_add_co_ci_u32_e64 v160, null, v44, v95, vcc_lo
	v_add_co_u32 v161, vcc_lo, v35, v86
	;; [unrolled: 5-line block ×14, first 2 shown]
	v_add_co_ci_u32_e64 v210, null, v36, v107, vcc_lo
	v_add_co_u32 v211, vcc_lo, v37, v52
	v_and_b32_e32 v45, 30, v38
	v_ashrrev_i32_e32 v109, 31, v51
	v_add_co_ci_u32_e64 v212, null, v44, v108, vcc_lo
	v_add_co_u32 v213, vcc_lo, v35, v52
	v_add_co_ci_u32_e64 v214, null, v36, v108, vcc_lo
	v_add_co_u32 v215, vcc_lo, v37, v51
	v_ashrrev_i32_e32 v111, 31, v34
	v_add_nc_u32_e32 v45, 2, v45
	v_xor_b32_e32 v46, 1, v38
	v_add_co_ci_u32_e64 v216, null, v44, v109, vcc_lo
	v_add_co_u32 v217, vcc_lo, v35, v51
	v_add_co_ci_u32_e64 v218, null, v36, v109, vcc_lo
	v_add_co_u32 v37, vcc_lo, v37, v34
	v_add_co_ci_u32_e64 v44, null, v44, v111, vcc_lo
	v_cmp_lt_i32_e32 vcc_lo, v46, v45
	v_xor_b32_e32 v47, 8, v38
	v_mul_lo_u32 v11, v11, s18
	v_xor_b32_e32 v48, 16, v38
	s_mul_i32 s36, s24, s33
	v_cndmask_b32_e32 v45, v38, v46, vcc_lo
	v_add_co_u32 v34, vcc_lo, v35, v34
	v_add_co_ci_u32_e64 v35, null, v36, v111, vcc_lo
	v_xor_b32_e32 v36, 2, v38
	v_xor_b32_e32 v46, 4, v38
	v_add_nc_u32_e32 v59, s18, v11
	s_mov_b32 s9, s3
	v_add_co_u32 v60, s3, s36, v43
	v_cmp_gt_i32_e32 vcc_lo, 32, v36
	v_add_co_ci_u32_e64 v63, null, s25, 0, s3
	s_lshl_b64 s[14:15], s[8:9], 1
	s_add_u32 s3, s12, s39
	v_cndmask_b32_e32 v36, v38, v36, vcc_lo
	v_cmp_gt_i32_e32 vcc_lo, 32, v46
	s_addc_u32 s9, s13, s40
	v_lshlrev_b32_e32 v45, 2, v45
	s_mul_i32 s24, s26, s2
	v_cndmask_b32_e32 v49, v38, v46, vcc_lo
	v_cmp_gt_i32_e32 vcc_lo, 32, v47
	v_lshlrev_b32_e32 v46, 2, v36
	v_ashrrev_i32_e32 v36, 31, v59
	v_cndmask_b32_e32 v50, v38, v47, vcc_lo
	v_cmp_gt_i32_e32 vcc_lo, 32, v48
	v_lshlrev_b32_e32 v47, 2, v49
	v_cndmask_b32_e32 v51, v38, v48, vcc_lo
	v_lshlrev_b32_e32 v48, 2, v50
	v_lshlrev_b32_e32 v50, 1, v10
	;; [unrolled: 1-line block ×3, first 2 shown]
	v_add_co_u32 v51, vcc_lo, v60, v59
	v_add_co_ci_u32_e64 v52, null, v63, v36, vcc_lo
	v_add_co_u32 v51, vcc_lo, s38, v51
	v_add_co_ci_u32_e64 v52, null, s41, v52, vcc_lo
	;; [unrolled: 2-line block ×5, first 2 shown]
	v_add_co_u32 v10, vcc_lo, v60, s35
	s_add_u32 s3, s38, s36
	v_add_co_ci_u32_e64 v12, null, s27, v63, vcc_lo
	v_ashrrev_i32_e32 v13, 31, v11
	s_addc_u32 s9, s41, s25
	v_add_co_u32 v59, vcc_lo, s3, v59
	v_add_co_ci_u32_e64 v60, null, s9, v36, vcc_lo
	v_add_co_u32 v10, vcc_lo, v10, v11
	v_add_co_ci_u32_e64 v12, null, v12, v13, vcc_lo
	;; [unrolled: 2-line block ×5, first 2 shown]
	v_add_co_u32 v67, vcc_lo, s12, v67
	s_add_u32 s3, s36, s35
	s_addc_u32 s9, s25, s27
	v_add_co_ci_u32_e64 v68, null, s13, v68, vcc_lo
	v_add_co_u32 v69, vcc_lo, s12, v69
	s_add_u32 s3, s10, s3
	v_add_co_ci_u32_e64 v70, null, s13, v70, vcc_lo
	s_addc_u32 s9, s11, s9
	v_add_co_u32 v10, vcc_lo, s3, v11
	v_add_co_ci_u32_e64 v11, null, s9, v13, vcc_lo
	v_add_co_u32 v71, vcc_lo, s12, v71
	v_add_co_ci_u32_e64 v72, null, s13, v72, vcc_lo
	;; [unrolled: 2-line block ×59, first 2 shown]
	v_mov_b32_e32 v44, 0
	v_or_b32_e32 v187, 8, v43
	v_or_b32_e32 v188, 16, v43
	;; [unrolled: 1-line block ×3, first 2 shown]
	v_mov_b32_e32 v193, 0xfeffffff
	v_mov_b32_e32 v191, 0
	v_mov_b32_e32 v190, 0x10001
	v_mov_b32_e32 v192, 0
	s_mul_i32 s3, s18, s2
	s_mul_i32 s9, s8, s18
	s_mul_i32 s10, s8, s26
.LBB14_11:                              ; =>This Inner Loop Header: Depth=1
	v_add_co_u32 v32, vcc_lo, v73, s3
	v_add_co_ci_u32_e64 v33, null, 0, v74, vcc_lo
	v_add_co_u32 v34, vcc_lo, v63, s3
	v_add_co_ci_u32_e64 v35, null, 0, v64, vcc_lo
	global_load_dwordx2 v[12:13], v[32:33], off offset:-76
	global_load_dword v194, v[34:35], off offset:8
	global_load_dwordx2 v[36:37], v[32:33], off offset:-52
	global_load_dword v196, v[34:35], off offset:32
	s_clause 0x1
	global_load_dwordx2 v[10:11], v[32:33], off offset:-28
	global_load_dwordx2 v[32:33], v[32:33], off offset:-4
	s_clause 0x5
	global_load_dword v195, v[34:35], off offset:88
	global_load_dword v198, v[34:35], off offset:64
	;; [unrolled: 1-line block ×6, first 2 shown]
	s_and_b32 vcc_lo, exec_lo, s19
	s_waitcnt vmcnt(11)
	v_ashrrev_i32_e32 v197, v43, v13
	v_ashrrev_i32_e32 v202, v187, v13
	s_waitcnt vmcnt(10)
	v_and_b32_e32 v201, 0xf0f0f0f, v194
	v_ashrrev_i32_e32 v205, v188, v13
	v_ashrrev_i32_e32 v206, v189, v13
	v_lshlrev_b32_e32 v203, 18, v197
	v_lshlrev_b32_e32 v204, 25, v197
	;; [unrolled: 1-line block ×4, first 2 shown]
	v_lshrrev_b32_e32 v194, 4, v194
	v_and_b32_e32 v13, 0x100000, v203
	v_and_b32_e32 v203, 0x10000000, v204
	v_lshlrev_b32_e32 v204, 4, v202
	v_lshlrev_b32_e32 v209, 18, v205
	v_and_b32_e32 v194, 0xf0f0f0f, v194
	s_waitcnt vmcnt(1)
	v_and_b32_e32 v216, 0xf0f0f0f, v215
	v_or3_b32 v201, v203, v201, v13
	v_lshlrev_b32_e32 v13, 25, v205
	v_and_b32_e32 v203, 16, v204
	v_and_b32_e32 v204, 0x100000, v207
	;; [unrolled: 1-line block ×5, first 2 shown]
	v_lshlrev_b32_e32 v209, 4, v206
	v_ashrrev_i32_e32 v35, v43, v33
	v_or3_b32 v203, v204, v207, v203
	v_lshlrev_b32_e32 v204, 18, v206
	v_lshlrev_b32_e32 v207, 25, v206
	v_or3_b32 v194, v13, v194, v208
	v_ashrrev_i32_e32 v208, v43, v37
	v_and_b32_e32 v13, 16, v209
	v_and_b32_e32 v204, 0x100000, v204
	;; [unrolled: 1-line block ×3, first 2 shown]
	s_waitcnt vmcnt(0)
	v_and_b32_e32 v221, 0xf0f0f0f, v34
	v_lshlrev_b32_e32 v209, 18, v208
	v_lshrrev_b32_e32 v34, 4, v34
	v_or3_b32 v204, v204, v207, v13
	v_lshlrev_b32_e32 v13, 25, v208
	v_and_b32_e32 v207, 0xf0f0f0f, v196
	v_and_b32_e32 v209, 0x100000, v209
	;; [unrolled: 1-line block ×4, first 2 shown]
	v_or3_b32 v207, v13, v207, v209
	v_ashrrev_i32_e32 v209, v187, v37
	v_lshlrev_b32_e32 v13, 4, v209
	v_lshlrev_b32_e32 v210, 18, v209
	;; [unrolled: 1-line block ×3, first 2 shown]
	v_and_b32_e32 v13, 16, v13
	v_and_b32_e32 v210, 0x100000, v210
	;; [unrolled: 1-line block ×3, first 2 shown]
	v_or3_b32 v210, v210, v211, v13
	v_lshrrev_b32_e32 v13, 4, v196
	v_ashrrev_i32_e32 v196, v188, v37
	v_ashrrev_i32_e32 v37, v189, v37
	v_and_b32_e32 v13, 0xf0f0f0f, v13
	v_lshlrev_b32_e32 v211, 18, v196
	v_lshlrev_b32_e32 v212, 25, v196
	;; [unrolled: 1-line block ×3, first 2 shown]
	v_and_b32_e32 v211, 0x100000, v211
	v_and_b32_e32 v212, 0x10000000, v212
	;; [unrolled: 1-line block ×3, first 2 shown]
	v_or3_b32 v211, v212, v13, v211
	v_lshlrev_b32_e32 v13, 4, v37
	v_lshlrev_b32_e32 v212, 18, v37
	;; [unrolled: 1-line block ×3, first 2 shown]
	v_and_b32_e32 v13, 16, v13
	v_and_b32_e32 v212, 0x100000, v212
	;; [unrolled: 1-line block ×3, first 2 shown]
	v_or3_b32 v212, v212, v213, v13
	v_ashrrev_i32_e32 v213, v43, v11
	v_lshlrev_b32_e32 v13, 18, v213
	v_lshlrev_b32_e32 v214, 25, v213
	v_and_b32_e32 v13, 0x100000, v13
	v_and_b32_e32 v214, 0x10000000, v214
	v_or3_b32 v214, v214, v216, v13
	v_ashrrev_i32_e32 v216, v187, v11
	v_lshlrev_b32_e32 v13, 4, v216
	v_lshlrev_b32_e32 v217, 18, v216
	;; [unrolled: 1-line block ×3, first 2 shown]
	v_and_b32_e32 v13, 16, v13
	v_and_b32_e32 v217, 0x100000, v217
	;; [unrolled: 1-line block ×3, first 2 shown]
	v_or3_b32 v217, v217, v218, v13
	v_lshrrev_b32_e32 v13, 4, v215
	v_ashrrev_i32_e32 v215, v188, v11
	v_and_b32_e32 v13, 0xf0f0f0f, v13
	v_lshlrev_b32_e32 v218, 18, v215
	v_lshlrev_b32_e32 v219, 25, v215
	v_and_b32_e32 v218, 0x100000, v218
	v_and_b32_e32 v219, 0x10000000, v219
	v_or3_b32 v218, v219, v13, v218
	v_ashrrev_i32_e32 v219, v189, v11
	v_lshlrev_b32_e32 v11, 4, v219
	v_lshlrev_b32_e32 v13, 18, v219
	;; [unrolled: 1-line block ×3, first 2 shown]
	v_and_b32_e32 v11, 16, v11
	v_and_b32_e32 v13, 0x100000, v13
	;; [unrolled: 1-line block ×3, first 2 shown]
	v_or3_b32 v220, v13, v220, v11
	v_lshlrev_b32_e32 v11, 18, v35
	v_lshlrev_b32_e32 v13, 25, v35
	v_and_b32_e32 v11, 0x100000, v11
	v_and_b32_e32 v13, 0x10000000, v13
	v_or3_b32 v11, v13, v221, v11
	v_ashrrev_i32_e32 v221, v187, v33
	v_lshlrev_b32_e32 v13, 4, v221
	v_lshlrev_b32_e32 v222, 18, v221
	;; [unrolled: 1-line block ×3, first 2 shown]
	v_and_b32_e32 v13, 16, v13
	v_and_b32_e32 v222, 0x100000, v222
	;; [unrolled: 1-line block ×3, first 2 shown]
	v_or3_b32 v13, v222, v223, v13
	v_ashrrev_i32_e32 v222, v188, v33
	v_lshlrev_b32_e32 v223, 18, v222
	v_lshlrev_b32_e32 v224, 25, v222
	v_and_b32_e32 v223, 0x100000, v223
	v_and_b32_e32 v224, 0x10000000, v224
	v_or3_b32 v34, v224, v34, v223
	v_ashrrev_i32_e32 v223, v189, v33
	v_lshlrev_b32_e32 v33, 4, v223
	v_lshlrev_b32_e32 v224, 18, v223
	;; [unrolled: 1-line block ×3, first 2 shown]
	v_and_b32_e32 v33, 16, v33
	v_and_b32_e32 v224, 0x100000, v224
	;; [unrolled: 1-line block ×3, first 2 shown]
	v_or3_b32 v33, v224, v225, v33
	v_lshlrev_b32_e32 v224, 4, v197
	v_lshlrev_b32_e32 v197, 11, v197
	v_and_b32_e32 v224, 16, v224
	v_and_b32_e32 v197, 0x1000, v197
	v_or3_b32 v197, v201, v224, v197
	v_lshlrev_b32_e32 v201, 11, v202
	v_and_b32_e32 v202, 0xf0f0f0f, v200
	v_lshrrev_b32_e32 v200, 4, v200
	v_and_b32_e32 v201, 0x1000, v201
	v_and_b32_e32 v200, 0xf0f0f0f, v200
	v_or3_b32 v201, v203, v201, v202
	v_lshlrev_b32_e32 v202, 4, v205
	v_lshlrev_b32_e32 v203, 11, v205
	v_and_b32_e32 v205, 0xf0f0f0f, v198
	v_lshrrev_b32_e32 v198, 4, v198
	v_and_b32_e32 v202, 16, v202
	v_and_b32_e32 v203, 0x1000, v203
	v_and_b32_e32 v198, 0xf0f0f0f, v198
	v_or3_b32 v194, v194, v202, v203
	v_lshlrev_b32_e32 v202, 11, v206
	v_lshlrev_b32_e32 v203, 11, v208
	;; [unrolled: 1-line block ×3, first 2 shown]
	v_and_b32_e32 v202, 0x1000, v202
	v_and_b32_e32 v203, 0x1000, v203
	;; [unrolled: 1-line block ×3, first 2 shown]
	v_or3_b32 v200, v204, v202, v200
	v_lshlrev_b32_e32 v202, 4, v208
	v_and_b32_e32 v204, 0xf0f0f0f, v199
	v_lshrrev_b32_e32 v199, 4, v199
	v_lshlrev_b32_e32 v208, 11, v221
	v_and_b32_e32 v202, 16, v202
	v_and_b32_e32 v199, 0xf0f0f0f, v199
	;; [unrolled: 1-line block ×3, first 2 shown]
	v_or3_b32 v202, v207, v202, v203
	v_lshlrev_b32_e32 v203, 11, v209
	v_or3_b32 v37, v212, v37, v199
	v_lshlrev_b32_e32 v199, 4, v213
	v_mov_b32_e32 v207, 0
	v_lshlrev_b32_e32 v209, 11, v222
	v_and_b32_e32 v203, 0x1000, v203
	v_and_b32_e32 v199, 16, v199
	v_dot4c_i32_i8 v207, v197, v14
	v_mov_b32_e32 v197, 0
	v_or3_b32 v203, v210, v203, v204
	v_lshlrev_b32_e32 v204, 4, v196
	v_lshlrev_b32_e32 v196, 11, v196
	;; [unrolled: 1-line block ×3, first 2 shown]
	v_dot4c_i32_i8 v197, v201, v15
	v_mov_b32_e32 v201, 0
	v_and_b32_e32 v204, 16, v204
	v_and_b32_e32 v196, 0x1000, v196
	;; [unrolled: 1-line block ×3, first 2 shown]
	v_cvt_f32_i32_e32 v197, v197
	v_dot4c_i32_i8 v201, v194, v16
	v_mov_b32_e32 v194, 0
	v_or3_b32 v196, v211, v204, v196
	v_lshlrev_b32_e32 v204, 11, v213
	v_and_b32_e32 v210, 0x1000, v210
	v_cvt_f32_i32_e32 v201, v201
	v_dot4c_i32_i8 v194, v200, v17
	v_and_b32_e32 v204, 0x1000, v204
	v_cvt_f32_i32_e32 v194, v194
	v_or3_b32 v199, v214, v199, v204
	v_lshlrev_b32_e32 v204, 11, v216
	v_and_b32_e32 v204, 0x1000, v204
	v_or3_b32 v204, v217, v204, v205
	v_lshlrev_b32_e32 v205, 4, v215
	v_and_b32_e32 v205, 16, v205
	;; [unrolled: 3-line block ×3, first 2 shown]
	v_or3_b32 v198, v220, v206, v198
	v_cvt_f32_f16_e32 v206, v12
	v_cvt_f32_f16_sdwa v12, v12 dst_sel:DWORD dst_unused:UNUSED_PAD src0_sel:WORD_1
	v_mul_f32_e32 v200, v2, v206
	v_mul_f32_e32 v12, v3, v12
	v_cvt_f32_i32_e32 v206, v207
	v_mov_b32_e32 v207, 0
	v_mul_f32_e32 v12, 0x3e000000, v12
	v_fma_f32 v206, v200, v206, v12
	v_fma_f32 v197, v200, v197, v12
	;; [unrolled: 1-line block ×3, first 2 shown]
	v_fmac_f32_e32 v12, v200, v194
	v_mov_b32_e32 v200, 0
	v_cvt_f32_f16_e32 v194, v36
	v_cvt_f32_f16_sdwa v36, v36 dst_sel:DWORD dst_unused:UNUSED_PAD src0_sel:WORD_1
	v_dot4c_i32_i8 v200, v202, v18
	v_mov_b32_e32 v202, 0
	v_mul_f32_e32 v36, v5, v36
	v_mul_f32_e32 v194, v4, v194
	v_cvt_f32_i32_e32 v200, v200
	v_dot4c_i32_i8 v202, v203, v19
	v_mov_b32_e32 v203, 0
	v_mul_f32_e32 v36, 0x3e000000, v36
	v_cvt_f32_i32_e32 v202, v202
	v_dot4c_i32_i8 v203, v196, v20
	v_mov_b32_e32 v196, 0
	v_fma_f32 v200, v194, v200, v36
	v_fma_f32 v202, v194, v202, v36
	v_cvt_f32_i32_e32 v203, v203
	v_dot4c_i32_i8 v196, v37, v21
	v_add_f32_e32 v37, 0, v206
	v_cvt_f32_f16_e32 v206, v32
	v_cvt_f32_f16_sdwa v32, v32 dst_sel:DWORD dst_unused:UNUSED_PAD src0_sel:WORD_1
	v_fma_f32 v203, v194, v203, v36
	v_cvt_f32_i32_e32 v196, v196
	v_add_f32_e32 v37, v37, v197
	v_mov_b32_e32 v197, 0
	v_mul_f32_e32 v32, v9, v32
	v_mul_f32_e32 v206, v8, v206
	v_fmac_f32_e32 v36, v194, v196
	v_add_f32_e32 v37, v201, v37
	v_mov_b32_e32 v201, 0
	v_mov_b32_e32 v194, 0
	v_dot4c_i32_i8 v197, v199, v22
	v_mov_b32_e32 v196, 0
	v_add_f32_e32 v12, v37, v12
	v_cvt_f32_f16_e32 v37, v10
	v_cvt_f32_f16_sdwa v10, v10 dst_sel:DWORD dst_unused:UNUSED_PAD src0_sel:WORD_1
	v_dot4c_i32_i8 v201, v204, v23
	v_dot4c_i32_i8 v194, v205, v24
	v_add_f32_e32 v12, v12, v200
	v_lshlrev_b32_e32 v205, 4, v35
	v_mul_f32_e32 v10, v7, v10
	v_lshlrev_b32_e32 v35, 11, v35
	v_mul_f32_e32 v37, v6, v37
	v_add_f32_e32 v12, v12, v202
	v_cvt_f32_i32_e32 v197, v197
	v_mul_f32_e32 v10, 0x3e000000, v10
	v_and_b32_e32 v205, 16, v205
	v_and_b32_e32 v35, 0x1000, v35
	v_add_f32_e32 v12, v203, v12
	v_cvt_f32_i32_e32 v201, v201
	v_fma_f32 v197, v37, v197, v10
	v_and_b32_e32 v202, 0xf0f0f0f, v195
	v_lshlrev_b32_e32 v203, 4, v222
	v_add_f32_e32 v12, v12, v36
	v_or3_b32 v11, v11, v205, v35
	v_dot4c_i32_i8 v196, v198, v25
	v_cvt_f32_i32_e32 v35, v194
	v_fma_f32 v36, v37, v201, v10
	v_add_f32_e32 v12, v12, v197
	v_mov_b32_e32 v200, 0
	v_lshrrev_b32_e32 v195, 4, v195
	v_and_b32_e32 v203, 16, v203
	v_or3_b32 v13, v13, v208, v202
	v_dot4c_i32_i8 v207, v11, v26
	v_cvt_f32_i32_e32 v11, v196
	v_fma_f32 v35, v37, v35, v10
	v_add_f32_e32 v12, v12, v36
	v_mov_b32_e32 v199, 0
	v_and_b32_e32 v195, 0xf0f0f0f, v195
	v_mul_f32_e32 v32, 0x3e000000, v32
	v_or3_b32 v34, v34, v203, v209
	v_dot4c_i32_i8 v200, v13, v27
	v_cvt_f32_i32_e32 v13, v207
	v_fmac_f32_e32 v10, v37, v11
	v_add_f32_e32 v11, v35, v12
	v_mov_b32_e32 v204, 0
	v_or3_b32 v12, v33, v210, v195
	v_dot4c_i32_i8 v199, v34, v28
	v_cvt_f32_i32_e32 v33, v200
	v_fma_f32 v13, v206, v13, v32
	v_add_f32_e32 v10, v11, v10
	v_dot4c_i32_i8 v204, v12, v29
	v_cvt_f32_i32_e32 v11, v199
	v_fma_f32 v12, v206, v33, v32
	v_add_f32_e32 v10, v10, v13
	v_cvt_f32_i32_e32 v13, v204
	v_fma_f32 v11, v206, v11, v32
	v_add_f32_e32 v10, v10, v12
	v_fmac_f32_e32 v32, v206, v13
	v_add_f32_e32 v10, v11, v10
	v_add_f32_e32 v10, v10, v32
	ds_bpermute_b32 v11, v45, v10
	s_waitcnt lgkmcnt(0)
	v_add_f32_e32 v194, v10, v11
	s_cbranch_vccz .LBB14_13
; %bb.12:                               ;   in Loop: Header=BB14_11 Depth=1
	global_load_ushort v10, v[30:31], off offset:-2
	s_waitcnt vmcnt(0)
	v_fma_mix_f32 v194, v39, v10, v194 op_sel_hi:[0,1,0]
.LBB14_13:                              ;   in Loop: Header=BB14_11 Depth=1
	v_add_co_u32 v36, vcc_lo, v59, s3
	v_add_co_ci_u32_e64 v37, null, 0, v60, vcc_lo
	v_add_co_u32 v12, vcc_lo, v51, s3
	v_add_co_ci_u32_e64 v13, null, 0, v52, vcc_lo
	global_load_dwordx2 v[10:11], v[36:37], off
	global_load_dword v195, v[12:13], off offset:8
	global_load_dwordx2 v[32:33], v[36:37], off offset:24
	global_load_dword v196, v[12:13], off offset:32
	s_clause 0x1
	global_load_dwordx2 v[34:35], v[36:37], off offset:48
	global_load_dwordx2 v[36:37], v[36:37], off offset:72
	s_clause 0x5
	global_load_dword v198, v[12:13], off offset:88
	global_load_dword v199, v[12:13], off offset:64
	;; [unrolled: 1-line block ×6, first 2 shown]
	s_andn2_b32 vcc_lo, exec_lo, s19
	s_waitcnt vmcnt(11)
	v_ashrrev_i32_e32 v197, v43, v11
	v_ashrrev_i32_e32 v203, v187, v11
	s_waitcnt vmcnt(10)
	v_and_b32_e32 v202, 0xf0f0f0f, v195
	v_ashrrev_i32_e32 v206, v188, v11
	v_lshrrev_b32_e32 v195, 4, v195
	v_lshlrev_b32_e32 v204, 18, v197
	v_lshlrev_b32_e32 v205, 25, v197
	;; [unrolled: 1-line block ×5, first 2 shown]
	v_and_b32_e32 v204, 0x100000, v204
	v_and_b32_e32 v205, 0x10000000, v205
	v_ashrrev_i32_e32 v11, v189, v11
	v_lshlrev_b32_e32 v210, 18, v206
	v_and_b32_e32 v195, 0xf0f0f0f, v195
	s_waitcnt vmcnt(1)
	v_and_b32_e32 v217, 0xf0f0f0f, v216
	v_or3_b32 v202, v205, v202, v204
	v_lshlrev_b32_e32 v204, 25, v206
	v_and_b32_e32 v205, 16, v207
	v_and_b32_e32 v207, 0x100000, v208
	;; [unrolled: 1-line block ×5, first 2 shown]
	v_lshlrev_b32_e32 v210, 4, v11
	v_lshrrev_b32_e32 v216, 4, v216
	v_or3_b32 v205, v207, v208, v205
	v_lshlrev_b32_e32 v207, 18, v11
	v_lshlrev_b32_e32 v208, 25, v11
	v_or3_b32 v195, v204, v195, v209
	v_ashrrev_i32_e32 v204, v43, v33
	v_and_b32_e32 v209, 16, v210
	v_and_b32_e32 v207, 0x100000, v207
	;; [unrolled: 1-line block ×4, first 2 shown]
	v_lshlrev_b32_e32 v210, 18, v204
	v_ashrrev_i32_e32 v13, v43, v37
	s_waitcnt vmcnt(0)
	v_and_b32_e32 v222, 0xf0f0f0f, v12
	v_or3_b32 v207, v207, v208, v209
	v_lshlrev_b32_e32 v208, 25, v204
	v_and_b32_e32 v209, 0xf0f0f0f, v196
	v_and_b32_e32 v210, 0x100000, v210
	v_lshrrev_b32_e32 v196, 4, v196
	v_lshrrev_b32_e32 v12, 4, v12
	v_and_b32_e32 v208, 0x10000000, v208
	v_lshlrev_b32_e32 v11, 11, v11
	v_and_b32_e32 v196, 0xf0f0f0f, v196
	v_and_b32_e32 v12, 0xf0f0f0f, v12
	v_or3_b32 v208, v208, v209, v210
	v_ashrrev_i32_e32 v209, v187, v33
	v_and_b32_e32 v11, 0x1000, v11
	v_lshlrev_b32_e32 v210, 4, v209
	v_lshlrev_b32_e32 v211, 18, v209
	;; [unrolled: 1-line block ×3, first 2 shown]
	v_and_b32_e32 v210, 16, v210
	v_and_b32_e32 v211, 0x100000, v211
	;; [unrolled: 1-line block ×3, first 2 shown]
	v_or3_b32 v210, v211, v212, v210
	v_ashrrev_i32_e32 v211, v188, v33
	v_ashrrev_i32_e32 v33, v189, v33
	v_lshlrev_b32_e32 v212, 18, v211
	v_lshlrev_b32_e32 v213, 25, v211
	;; [unrolled: 1-line block ×3, first 2 shown]
	v_and_b32_e32 v212, 0x100000, v212
	v_and_b32_e32 v213, 0x10000000, v213
	;; [unrolled: 1-line block ×3, first 2 shown]
	v_or3_b32 v196, v213, v196, v212
	v_lshlrev_b32_e32 v212, 4, v33
	v_lshlrev_b32_e32 v213, 18, v33
	;; [unrolled: 1-line block ×3, first 2 shown]
	v_and_b32_e32 v212, 16, v212
	v_and_b32_e32 v213, 0x100000, v213
	;; [unrolled: 1-line block ×3, first 2 shown]
	v_or3_b32 v212, v213, v214, v212
	v_ashrrev_i32_e32 v213, v43, v35
	v_lshlrev_b32_e32 v214, 18, v213
	v_lshlrev_b32_e32 v215, 25, v213
	v_and_b32_e32 v214, 0x100000, v214
	v_and_b32_e32 v215, 0x10000000, v215
	v_or3_b32 v214, v215, v217, v214
	v_ashrrev_i32_e32 v215, v187, v35
	v_lshlrev_b32_e32 v217, 4, v215
	v_lshlrev_b32_e32 v218, 18, v215
	;; [unrolled: 1-line block ×3, first 2 shown]
	v_and_b32_e32 v217, 16, v217
	v_and_b32_e32 v218, 0x100000, v218
	;; [unrolled: 1-line block ×3, first 2 shown]
	v_or3_b32 v217, v218, v219, v217
	v_ashrrev_i32_e32 v218, v188, v35
	v_ashrrev_i32_e32 v35, v189, v35
	v_lshlrev_b32_e32 v219, 18, v218
	v_lshlrev_b32_e32 v220, 25, v218
	;; [unrolled: 1-line block ×3, first 2 shown]
	v_and_b32_e32 v219, 0x100000, v219
	v_and_b32_e32 v220, 0x10000000, v220
	;; [unrolled: 1-line block ×3, first 2 shown]
	v_or3_b32 v216, v220, v216, v219
	v_lshlrev_b32_e32 v219, 4, v35
	v_lshlrev_b32_e32 v220, 18, v35
	;; [unrolled: 1-line block ×3, first 2 shown]
	v_and_b32_e32 v219, 16, v219
	v_and_b32_e32 v220, 0x100000, v220
	;; [unrolled: 1-line block ×3, first 2 shown]
	v_or3_b32 v219, v220, v221, v219
	v_lshlrev_b32_e32 v220, 18, v13
	v_lshlrev_b32_e32 v221, 25, v13
	v_and_b32_e32 v220, 0x100000, v220
	v_and_b32_e32 v221, 0x10000000, v221
	v_or3_b32 v220, v221, v222, v220
	v_ashrrev_i32_e32 v221, v187, v37
	v_lshlrev_b32_e32 v222, 4, v221
	v_lshlrev_b32_e32 v223, 18, v221
	;; [unrolled: 1-line block ×3, first 2 shown]
	v_and_b32_e32 v222, 16, v222
	v_and_b32_e32 v223, 0x100000, v223
	;; [unrolled: 1-line block ×3, first 2 shown]
	v_or3_b32 v222, v223, v224, v222
	v_ashrrev_i32_e32 v223, v188, v37
	v_lshlrev_b32_e32 v224, 18, v223
	v_lshlrev_b32_e32 v225, 25, v223
	v_and_b32_e32 v224, 0x100000, v224
	v_and_b32_e32 v225, 0x10000000, v225
	v_or3_b32 v12, v225, v12, v224
	v_lshlrev_b32_e32 v224, 4, v197
	v_lshlrev_b32_e32 v197, 11, v197
	v_and_b32_e32 v224, 16, v224
	v_and_b32_e32 v197, 0x1000, v197
	v_or3_b32 v197, v202, v224, v197
	v_lshlrev_b32_e32 v202, 11, v203
	v_and_b32_e32 v203, 0xf0f0f0f, v201
	v_lshrrev_b32_e32 v201, 4, v201
	v_and_b32_e32 v202, 0x1000, v202
	v_and_b32_e32 v201, 0xf0f0f0f, v201
	v_or3_b32 v202, v205, v202, v203
	v_lshlrev_b32_e32 v203, 4, v206
	v_lshlrev_b32_e32 v205, 11, v206
	v_or3_b32 v11, v207, v11, v201
	v_lshlrev_b32_e32 v201, 4, v204
	v_lshlrev_b32_e32 v206, 11, v218
	v_and_b32_e32 v203, 16, v203
	v_and_b32_e32 v205, 0x1000, v205
	v_mov_b32_e32 v207, 0
	v_and_b32_e32 v201, 16, v201
	v_and_b32_e32 v206, 0x1000, v206
	v_or3_b32 v195, v195, v203, v205
	v_lshlrev_b32_e32 v203, 11, v204
	v_and_b32_e32 v204, 0xf0f0f0f, v200
	v_lshlrev_b32_e32 v205, 11, v211
	v_lshrrev_b32_e32 v200, 4, v200
	v_and_b32_e32 v203, 0x1000, v203
	v_and_b32_e32 v205, 0x1000, v205
	v_and_b32_e32 v200, 0xf0f0f0f, v200
	v_or3_b32 v201, v208, v201, v203
	v_lshlrev_b32_e32 v203, 11, v209
	v_cvt_f32_f16_e32 v208, v36
	v_or3_b32 v33, v212, v33, v200
	v_lshlrev_b32_e32 v200, 4, v213
	v_lshlrev_b32_e32 v209, 11, v221
	v_and_b32_e32 v203, 0x1000, v203
	v_mul_f32_e32 v208, v8, v208
	v_and_b32_e32 v200, 16, v200
	v_and_b32_e32 v209, 0x1000, v209
	v_or3_b32 v203, v210, v203, v204
	v_lshlrev_b32_e32 v204, 4, v211
	v_lshlrev_b32_e32 v210, 11, v223
	v_and_b32_e32 v204, 16, v204
	v_and_b32_e32 v210, 0x1000, v210
	v_or3_b32 v196, v196, v204, v205
	v_lshlrev_b32_e32 v204, 11, v213
	v_and_b32_e32 v205, 0xf0f0f0f, v199
	v_lshrrev_b32_e32 v199, 4, v199
	v_dot4c_i32_i8 v207, v196, v20
	v_and_b32_e32 v204, 0x1000, v204
	v_mov_b32_e32 v196, 0
	v_and_b32_e32 v199, 0xf0f0f0f, v199
	v_cvt_f32_i32_e32 v207, v207
	v_or3_b32 v200, v214, v200, v204
	v_lshlrev_b32_e32 v204, 11, v215
	v_or3_b32 v35, v219, v35, v199
	v_lshlrev_b32_e32 v199, 4, v13
	v_lshlrev_b32_e32 v13, 11, v13
	v_and_b32_e32 v204, 0x1000, v204
	v_and_b32_e32 v199, 16, v199
	v_and_b32_e32 v13, 0x1000, v13
	v_or3_b32 v204, v217, v204, v205
	v_lshlrev_b32_e32 v205, 4, v218
	v_or3_b32 v13, v220, v199, v13
	v_cvt_f32_f16_e32 v199, v10
	v_cvt_f32_f16_sdwa v10, v10 dst_sel:DWORD dst_unused:UNUSED_PAD src0_sel:WORD_1
	v_and_b32_e32 v205, 16, v205
	v_dot4c_i32_i8 v196, v204, v23
	v_mul_f32_e32 v199, v2, v199
	v_mul_f32_e32 v10, v3, v10
	v_or3_b32 v205, v216, v205, v206
	v_mov_b32_e32 v206, 0
	v_cvt_f32_i32_e32 v196, v196
	v_mul_f32_e32 v10, 0x3e000000, v10
	v_dot4c_i32_i8 v206, v197, v14
	v_mov_b32_e32 v197, 0
	v_dot4c_i32_i8 v197, v202, v15
	v_mov_b32_e32 v202, 0
	v_cvt_f32_i32_e32 v197, v197
	v_dot4c_i32_i8 v202, v195, v16
	v_mov_b32_e32 v195, 0
	v_fma_f32 v197, v199, v197, v10
	v_cvt_f32_i32_e32 v202, v202
	v_dot4c_i32_i8 v195, v11, v17
	v_cvt_f32_i32_e32 v11, v206
	v_mov_b32_e32 v206, 0
	v_fma_f32 v202, v199, v202, v10
	v_cvt_f32_i32_e32 v195, v195
	v_fma_f32 v11, v199, v11, v10
	v_dot4c_i32_i8 v206, v201, v18
	v_mov_b32_e32 v201, 0
	v_fmac_f32_e32 v10, v199, v195
	v_cvt_f32_f16_e32 v199, v32
	v_cvt_f32_f16_sdwa v32, v32 dst_sel:DWORD dst_unused:UNUSED_PAD src0_sel:WORD_1
	v_add_f32_e32 v11, 0, v11
	v_mov_b32_e32 v195, 0
	v_cvt_f32_i32_e32 v206, v206
	v_mul_f32_e32 v199, v4, v199
	v_mul_f32_e32 v32, v5, v32
	v_add_f32_e32 v11, v11, v197
	v_dot4c_i32_i8 v195, v203, v19
	v_mov_b32_e32 v203, 0
	v_dot4c_i32_i8 v201, v33, v21
	v_mul_f32_e32 v32, 0x3e000000, v32
	v_add_f32_e32 v11, v202, v11
	v_cvt_f32_i32_e32 v195, v195
	v_cvt_f32_f16_e32 v202, v34
	v_cvt_f32_f16_sdwa v34, v34 dst_sel:DWORD dst_unused:UNUSED_PAD src0_sel:WORD_1
	v_fma_f32 v206, v199, v206, v32
	v_add_f32_e32 v10, v11, v10
	v_fma_f32 v195, v199, v195, v32
	v_cvt_f32_i32_e32 v201, v201
	v_fma_f32 v207, v199, v207, v32
	v_dot4c_i32_i8 v203, v200, v22
	v_add_f32_e32 v10, v10, v206
	v_mul_f32_e32 v34, v7, v34
	v_mov_b32_e32 v33, 0
	v_fmac_f32_e32 v32, v199, v201
	v_mul_f32_e32 v202, v6, v202
	v_add_f32_e32 v10, v10, v195
	v_mul_f32_e32 v34, 0x3e000000, v34
	v_cvt_f32_i32_e32 v203, v203
	v_mov_b32_e32 v197, 0
	v_cvt_f32_f16_sdwa v11, v36 dst_sel:DWORD dst_unused:UNUSED_PAD src0_sel:WORD_1
	v_add_f32_e32 v10, v207, v10
	v_ashrrev_i32_e32 v36, v189, v37
	v_dot4c_i32_i8 v33, v205, v24
	v_fma_f32 v203, v202, v203, v34
	v_mov_b32_e32 v199, 0
	v_add_f32_e32 v10, v10, v32
	v_and_b32_e32 v206, 0xf0f0f0f, v198
	v_lshlrev_b32_e32 v195, 4, v223
	v_lshlrev_b32_e32 v204, 4, v36
	;; [unrolled: 1-line block ×5, first 2 shown]
	v_dot4c_i32_i8 v197, v35, v25
	v_cvt_f32_i32_e32 v33, v33
	v_fma_f32 v35, v202, v196, v34
	v_add_f32_e32 v10, v10, v203
	v_mov_b32_e32 v201, 0
	v_lshrrev_b32_e32 v198, 4, v198
	v_mul_f32_e32 v11, v9, v11
	v_and_b32_e32 v195, 16, v195
	v_and_b32_e32 v204, 16, v204
	;; [unrolled: 1-line block ×4, first 2 shown]
	v_or3_b32 v36, v222, v209, v206
	v_dot4c_i32_i8 v199, v13, v26
	v_cvt_f32_i32_e32 v13, v197
	v_fma_f32 v33, v202, v33, v34
	v_add_f32_e32 v10, v10, v35
	v_mov_b32_e32 v37, 0
	v_and_b32_e32 v198, 0xf0f0f0f, v198
	v_mul_f32_e32 v11, 0x3e000000, v11
	v_and_b32_e32 v205, 0x1000, v205
	v_or3_b32 v12, v12, v195, v210
	v_dot4c_i32_i8 v201, v36, v27
	v_cvt_f32_i32_e32 v35, v199
	v_fmac_f32_e32 v34, v202, v13
	v_add_f32_e32 v10, v33, v10
	v_or3_b32 v13, v207, v32, v204
	v_mov_b32_e32 v200, 0
	v_dot4c_i32_i8 v37, v12, v28
	v_cvt_f32_i32_e32 v12, v201
	v_fma_f32 v32, v208, v35, v11
	v_add_f32_e32 v10, v10, v34
	v_or3_b32 v13, v13, v205, v198
	v_cvt_f32_i32_e32 v33, v37
	v_fma_f32 v12, v208, v12, v11
	v_add_f32_e32 v10, v10, v32
	v_dot4c_i32_i8 v200, v13, v29
	v_fma_f32 v13, v208, v33, v11
	v_add_f32_e32 v10, v10, v12
	v_cvt_f32_i32_e32 v12, v200
	v_add_f32_e32 v10, v13, v10
	v_fmac_f32_e32 v11, v208, v12
	v_add_f32_e32 v10, v10, v11
	ds_bpermute_b32 v11, v45, v10
	s_waitcnt lgkmcnt(0)
	v_add_f32_e32 v10, v10, v11
	s_cbranch_vccnz .LBB14_15
; %bb.14:                               ;   in Loop: Header=BB14_11 Depth=1
	global_load_ushort v11, v[30:31], off
	s_waitcnt vmcnt(0)
	v_fma_mix_f32 v10, v39, v11, v10 op_sel_hi:[0,1,0]
.LBB14_15:                              ;   in Loop: Header=BB14_11 Depth=1
	v_add_f32_e32 v11, 0x40051340, v194
	v_add_f32_e32 v12, 0x40051340, v10
	v_cndmask_b32_e64 v10, v10, v194, s1
	s_add_i32 s2, s2, s8
	s_cmp_ge_i32 s2, s34
	v_max3_f32 v11, v193, v11, v12
	ds_bpermute_b32 v12, v46, v11
	s_waitcnt lgkmcnt(0)
	v_max_f32_e32 v12, v12, v12
	v_max_f32_e32 v11, v11, v12
	ds_bpermute_b32 v12, v47, v11
	s_waitcnt lgkmcnt(0)
	v_max_f32_e32 v12, v12, v12
	v_max_f32_e32 v11, v11, v12
	ds_bpermute_b32 v12, v48, v11
	s_waitcnt lgkmcnt(0)
	v_max_f32_e32 v12, v12, v12
	v_max_f32_e32 v11, v11, v12
	ds_bpermute_b32 v12, v49, v11
	s_waitcnt lgkmcnt(0)
	v_max_f32_e32 v12, v12, v12
	v_max_f32_e32 v32, v11, v12
	v_sub_f32_e32 v10, v10, v32
	v_sub_f32_e32 v193, v193, v32
	v_mul_f32_e32 v11, 0x3fb8aa3b, v10
	v_cmp_ngt_f32_e32 vcc_lo, 0xc2ce8ed0, v10
	v_fma_f32 v12, 0x3fb8aa3b, v10, -v11
	v_rndne_f32_e32 v13, v11
	v_fmac_f32_e32 v12, 0x32a5705f, v10
	v_sub_f32_e32 v11, v11, v13
	v_add_f32_e32 v11, v11, v12
	v_cvt_i32_f32_e32 v12, v13
	v_exp_f32_e32 v11, v11
	v_ldexp_f32 v11, v11, v12
	v_cndmask_b32_e32 v11, 0, v11, vcc_lo
	v_cmp_nlt_f32_e32 vcc_lo, 0x42b17218, v10
	v_cndmask_b32_e32 v33, 0x7f800000, v11, vcc_lo
	v_cvt_f16_f32_e32 v10, v33
	ds_write_b16 v41, v10
	ds_read_b128 v[10:13], v50
	ds_read_b128 v[203:206], v50 offset:16
	s_waitcnt lgkmcnt(1)
	v_mul_u32_u24_sdwa v202, v10, v190 dst_sel:DWORD dst_unused:UNUSED_PAD src0_sel:WORD_0 src1_sel:DWORD
	v_mul_u32_u24_sdwa v200, v10, v190 dst_sel:DWORD dst_unused:UNUSED_PAD src0_sel:WORD_1 src1_sel:DWORD
	v_mul_u32_u24_sdwa v198, v11, v190 dst_sel:DWORD dst_unused:UNUSED_PAD src0_sel:WORD_0 src1_sel:DWORD
	v_mul_u32_u24_sdwa v196, v11, v190 dst_sel:DWORD dst_unused:UNUSED_PAD src0_sel:WORD_1 src1_sel:DWORD
	;; [unrolled: 2-line block ×4, first 2 shown]
	ds_read_b128 v[10:13], v50 offset:32
	ds_read_b128 v[215:218], v50 offset:48
	s_waitcnt lgkmcnt(2)
	v_mul_u32_u24_sdwa v36, v203, v190 dst_sel:DWORD dst_unused:UNUSED_PAD src0_sel:WORD_0 src1_sel:DWORD
	v_mul_u32_u24_sdwa v194, v203, v190 dst_sel:DWORD dst_unused:UNUSED_PAD src0_sel:WORD_1 src1_sel:DWORD
	v_mul_u32_u24_sdwa v197, v204, v190 dst_sel:DWORD dst_unused:UNUSED_PAD src0_sel:WORD_0 src1_sel:DWORD
	v_mul_u32_u24_sdwa v199, v204, v190 dst_sel:DWORD dst_unused:UNUSED_PAD src0_sel:WORD_1 src1_sel:DWORD
	v_mul_u32_u24_sdwa v201, v205, v190 dst_sel:DWORD dst_unused:UNUSED_PAD src0_sel:WORD_0 src1_sel:DWORD
	v_mul_u32_u24_sdwa v203, v205, v190 dst_sel:DWORD dst_unused:UNUSED_PAD src0_sel:WORD_1 src1_sel:DWORD
	v_mul_u32_u24_sdwa v204, v206, v190 dst_sel:DWORD dst_unused:UNUSED_PAD src0_sel:WORD_0 src1_sel:DWORD
	v_mul_u32_u24_sdwa v205, v206, v190 dst_sel:DWORD dst_unused:UNUSED_PAD src0_sel:WORD_1 src1_sel:DWORD
	s_waitcnt lgkmcnt(1)
	v_mul_u32_u24_sdwa v214, v10, v190 dst_sel:DWORD dst_unused:UNUSED_PAD src0_sel:WORD_0 src1_sel:DWORD
	v_mul_u32_u24_sdwa v212, v10, v190 dst_sel:DWORD dst_unused:UNUSED_PAD src0_sel:WORD_1 src1_sel:DWORD
	v_mul_u32_u24_sdwa v211, v11, v190 dst_sel:DWORD dst_unused:UNUSED_PAD src0_sel:WORD_0 src1_sel:DWORD
	v_mul_u32_u24_sdwa v209, v11, v190 dst_sel:DWORD dst_unused:UNUSED_PAD src0_sel:WORD_1 src1_sel:DWORD
	v_mul_u32_u24_sdwa v207, v12, v190 dst_sel:DWORD dst_unused:UNUSED_PAD src0_sel:WORD_0 src1_sel:DWORD
	v_mul_u32_u24_sdwa v206, v12, v190 dst_sel:DWORD dst_unused:UNUSED_PAD src0_sel:WORD_1 src1_sel:DWORD
	v_mul_u32_u24_sdwa v12, v13, v190 dst_sel:DWORD dst_unused:UNUSED_PAD src0_sel:WORD_0 src1_sel:DWORD
	v_mul_u32_u24_sdwa v11, v13, v190 dst_sel:DWORD dst_unused:UNUSED_PAD src0_sel:WORD_1 src1_sel:DWORD
	;; [unrolled: 9-line block ×3, first 2 shown]
	v_add_co_u32 v218, vcc_lo, v55, s24
	v_add_co_ci_u32_e64 v219, null, 0, v56, vcc_lo
	global_load_dword v220, v[218:219], off offset:2
	v_add_co_u32 v218, vcc_lo, v53, s24
	v_add_co_ci_u32_e64 v219, null, 0, v54, vcc_lo
	v_cmp_ngt_f32_e32 vcc_lo, 0xc2ce8ed0, v193
	global_load_ushort v218, v[218:219], off
	v_mul_f32_e32 v219, 0x3fb8aa3b, v193
	v_fma_f32 v221, 0x3fb8aa3b, v193, -v219
	v_rndne_f32_e32 v222, v219
	v_fmac_f32_e32 v221, 0x32a5705f, v193
	v_sub_f32_e32 v219, v219, v222
	v_add_f32_e32 v219, v219, v221
	v_cvt_i32_f32_e32 v221, v222
	v_exp_f32_e32 v219, v219
	v_ldexp_f32 v219, v219, v221
	v_cndmask_b32_e32 v219, 0, v219, vcc_lo
	v_cmp_nlt_f32_e32 vcc_lo, 0x42b17218, v193
	v_cndmask_b32_e32 v193, 0x7f800000, v219, vcc_lo
	v_fma_f32 v44, v44, v193, v33
	v_cvt_f16_f32_e32 v33, v193
	v_mul_u32_u24_sdwa v33, v33, v190 dst_sel:DWORD dst_unused:UNUSED_PAD src0_sel:WORD_0 src1_sel:DWORD
	v_pk_mul_f16 v192, v192, v33
	v_pk_mul_f16 v33, v191, v33
	s_waitcnt vmcnt(1)
	v_pk_lshrrev_b16 v191, 8, v220 op_sel:[1,0] op_sel_hi:[0,0]
	v_lshrrev_b32_e32 v193, 16, v191
	v_cvt_f16_i16_sdwa v191, sext(v191) dst_sel:DWORD dst_unused:UNUSED_PAD src0_sel:BYTE_0
	s_waitcnt vmcnt(0)
	v_mul_u32_u24_e32 v218, 0x10001, v218
	v_cvt_f16_i16_sdwa v193, sext(v193) dst_sel:DWORD dst_unused:UNUSED_PAD src0_sel:BYTE_0
	v_pack_b32_f16 v191, v191, v193
	v_pk_lshrrev_b16 v193, 8, v220 op_sel:[1,1] op_sel_hi:[0,1]
	v_pk_mul_f16 v191, v191, v218
	v_lshrrev_b32_e32 v219, 16, v193
	v_cvt_f16_i16_sdwa v193, sext(v193) dst_sel:DWORD dst_unused:UNUSED_PAD src0_sel:BYTE_0
	v_cvt_f16_i16_sdwa v219, sext(v219) dst_sel:DWORD dst_unused:UNUSED_PAD src0_sel:BYTE_0
	v_pack_b32_f16 v193, v193, v219
	v_pk_mul_f16 v193, v193, v218
	v_pk_fma_f16 v218, v191, v202, v192
	v_add_co_u32 v191, vcc_lo, v61, s24
	v_add_co_ci_u32_e64 v192, null, 0, v62, vcc_lo
	v_pk_fma_f16 v33, v193, v202, v33
	global_load_dword v193, v[191:192], off offset:2
	v_add_co_u32 v191, vcc_lo, v57, s24
	v_add_co_ci_u32_e64 v192, null, 0, v58, vcc_lo
	global_load_ushort v191, v[191:192], off
	s_waitcnt vmcnt(1)
	v_pk_lshrrev_b16 v192, 8, v193 op_sel:[1,0] op_sel_hi:[0,0]
	v_pk_lshrrev_b16 v193, 8, v193 op_sel:[1,1] op_sel_hi:[0,1]
	v_lshrrev_b32_e32 v202, 16, v192
	v_cvt_f16_i16_sdwa v192, sext(v192) dst_sel:DWORD dst_unused:UNUSED_PAD src0_sel:BYTE_0
	s_waitcnt vmcnt(0)
	v_mul_u32_u24_e32 v191, 0x10001, v191
	v_cvt_f16_i16_sdwa v202, sext(v202) dst_sel:DWORD dst_unused:UNUSED_PAD src0_sel:BYTE_0
	v_pack_b32_f16 v192, v192, v202
	v_lshrrev_b32_e32 v202, 16, v193
	v_cvt_f16_i16_sdwa v193, sext(v193) dst_sel:DWORD dst_unused:UNUSED_PAD src0_sel:BYTE_0
	v_pk_mul_f16 v192, v192, v191
	v_cvt_f16_i16_sdwa v202, sext(v202) dst_sel:DWORD dst_unused:UNUSED_PAD src0_sel:BYTE_0
	v_pack_b32_f16 v193, v193, v202
	v_pk_mul_f16 v191, v193, v191
	v_pk_fma_f16 v193, v192, v200, v218
	v_pk_fma_f16 v33, v191, v200, v33
	v_add_co_u32 v191, vcc_lo, v67, s24
	v_add_co_ci_u32_e64 v192, null, 0, v68, vcc_lo
	global_load_dword v200, v[191:192], off offset:2
	v_add_co_u32 v191, vcc_lo, v65, s24
	v_add_co_ci_u32_e64 v192, null, 0, v66, vcc_lo
	global_load_ushort v191, v[191:192], off
	s_waitcnt vmcnt(1)
	v_pk_lshrrev_b16 v192, 8, v200 op_sel:[1,0] op_sel_hi:[0,0]
	v_pk_lshrrev_b16 v200, 8, v200 op_sel:[1,1] op_sel_hi:[0,1]
	v_lshrrev_b32_e32 v202, 16, v192
	v_cvt_f16_i16_sdwa v192, sext(v192) dst_sel:DWORD dst_unused:UNUSED_PAD src0_sel:BYTE_0
	s_waitcnt vmcnt(0)
	v_mul_u32_u24_e32 v191, 0x10001, v191
	v_cvt_f16_i16_sdwa v202, sext(v202) dst_sel:DWORD dst_unused:UNUSED_PAD src0_sel:BYTE_0
	v_pack_b32_f16 v192, v192, v202
	v_lshrrev_b32_e32 v202, 16, v200
	v_cvt_f16_i16_sdwa v200, sext(v200) dst_sel:DWORD dst_unused:UNUSED_PAD src0_sel:BYTE_0
	v_pk_mul_f16 v192, v192, v191
	v_cvt_f16_i16_sdwa v202, sext(v202) dst_sel:DWORD dst_unused:UNUSED_PAD src0_sel:BYTE_0
	v_pk_fma_f16 v193, v192, v198, v193
	v_pack_b32_f16 v200, v200, v202
	v_pk_mul_f16 v191, v200, v191
	v_pk_fma_f16 v33, v191, v198, v33
	v_add_co_u32 v191, vcc_lo, v71, s24
	v_add_co_ci_u32_e64 v192, null, 0, v72, vcc_lo
	global_load_dword v198, v[191:192], off offset:2
	v_add_co_u32 v191, vcc_lo, v69, s24
	v_add_co_ci_u32_e64 v192, null, 0, v70, vcc_lo
	global_load_ushort v191, v[191:192], off
	s_waitcnt vmcnt(1)
	v_pk_lshrrev_b16 v192, 8, v198 op_sel:[1,0] op_sel_hi:[0,0]
	v_pk_lshrrev_b16 v198, 8, v198 op_sel:[1,1] op_sel_hi:[0,1]
	v_lshrrev_b32_e32 v200, 16, v192
	v_cvt_f16_i16_sdwa v192, sext(v192) dst_sel:DWORD dst_unused:UNUSED_PAD src0_sel:BYTE_0
	s_waitcnt vmcnt(0)
	v_mul_u32_u24_e32 v191, 0x10001, v191
	v_cvt_f16_i16_sdwa v200, sext(v200) dst_sel:DWORD dst_unused:UNUSED_PAD src0_sel:BYTE_0
	v_pack_b32_f16 v192, v192, v200
	v_lshrrev_b32_e32 v200, 16, v198
	v_cvt_f16_i16_sdwa v198, sext(v198) dst_sel:DWORD dst_unused:UNUSED_PAD src0_sel:BYTE_0
	v_pk_mul_f16 v192, v192, v191
	v_cvt_f16_i16_sdwa v200, sext(v200) dst_sel:DWORD dst_unused:UNUSED_PAD src0_sel:BYTE_0
	v_pk_fma_f16 v193, v192, v196, v193
	v_pack_b32_f16 v198, v198, v200
	v_pk_mul_f16 v191, v198, v191
	;; [unrolled: 23-line block ×5, first 2 shown]
	v_add_co_u32 v191, vcc_lo, v171, s24
	v_add_co_ci_u32_e64 v192, null, 0, v172, vcc_lo
	v_pk_fma_f16 v33, v37, v35, v33
	global_load_dword v35, v[191:192], off offset:2
	v_add_co_u32 v191, vcc_lo, v173, s24
	v_add_co_ci_u32_e64 v192, null, 0, v174, vcc_lo
	global_load_ushort v37, v[191:192], off
	s_waitcnt vmcnt(1)
	v_pk_lshrrev_b16 v191, 8, v35 op_sel:[1,0] op_sel_hi:[0,0]
	v_pk_lshrrev_b16 v35, 8, v35 op_sel:[1,1] op_sel_hi:[0,1]
	v_lshrrev_b32_e32 v192, 16, v191
	v_cvt_f16_i16_sdwa v191, sext(v191) dst_sel:DWORD dst_unused:UNUSED_PAD src0_sel:BYTE_0
	s_waitcnt vmcnt(0)
	v_mul_u32_u24_e32 v37, 0x10001, v37
	v_cvt_f16_i16_sdwa v192, sext(v192) dst_sel:DWORD dst_unused:UNUSED_PAD src0_sel:BYTE_0
	v_pack_b32_f16 v191, v191, v192
	v_lshrrev_b32_e32 v192, 16, v35
	v_cvt_f16_i16_sdwa v35, sext(v35) dst_sel:DWORD dst_unused:UNUSED_PAD src0_sel:BYTE_0
	v_pk_mul_f16 v191, v191, v37
	v_cvt_f16_i16_sdwa v192, sext(v192) dst_sel:DWORD dst_unused:UNUSED_PAD src0_sel:BYTE_0
	v_pack_b32_f16 v35, v35, v192
	v_pk_mul_f16 v35, v35, v37
	v_pk_fma_f16 v37, v191, v34, v193
	v_pk_fma_f16 v35, v35, v34, v33
	v_add_co_u32 v33, vcc_lo, v167, s24
	v_add_co_ci_u32_e64 v34, null, 0, v168, vcc_lo
	global_load_dword v191, v[33:34], off offset:2
	v_add_co_u32 v33, vcc_lo, v169, s24
	v_add_co_ci_u32_e64 v34, null, 0, v170, vcc_lo
	global_load_ushort v33, v[33:34], off
	s_waitcnt vmcnt(1)
	v_pk_lshrrev_b16 v34, 8, v191 op_sel:[1,0] op_sel_hi:[0,0]
	v_pk_lshrrev_b16 v191, 8, v191 op_sel:[1,1] op_sel_hi:[0,1]
	v_lshrrev_b32_e32 v192, 16, v34
	v_cvt_f16_i16_sdwa v34, sext(v34) dst_sel:DWORD dst_unused:UNUSED_PAD src0_sel:BYTE_0
	s_waitcnt vmcnt(0)
	v_mul_u32_u24_e32 v33, 0x10001, v33
	v_cvt_f16_i16_sdwa v192, sext(v192) dst_sel:DWORD dst_unused:UNUSED_PAD src0_sel:BYTE_0
	v_pack_b32_f16 v34, v34, v192
	v_lshrrev_b32_e32 v192, 16, v191
	v_cvt_f16_i16_sdwa v191, sext(v191) dst_sel:DWORD dst_unused:UNUSED_PAD src0_sel:BYTE_0
	v_pk_mul_f16 v34, v34, v33
	v_cvt_f16_i16_sdwa v192, sext(v192) dst_sel:DWORD dst_unused:UNUSED_PAD src0_sel:BYTE_0
	v_pk_fma_f16 v37, v34, v36, v37
	v_pack_b32_f16 v191, v191, v192
	v_pk_mul_f16 v33, v191, v33
	v_pk_fma_f16 v35, v33, v36, v35
	v_add_co_u32 v33, vcc_lo, v163, s24
	v_add_co_ci_u32_e64 v34, null, 0, v164, vcc_lo
	global_load_dword v36, v[33:34], off offset:2
	v_add_co_u32 v33, vcc_lo, v165, s24
	v_add_co_ci_u32_e64 v34, null, 0, v166, vcc_lo
	global_load_ushort v33, v[33:34], off
	s_waitcnt vmcnt(1)
	v_pk_lshrrev_b16 v34, 8, v36 op_sel:[1,0] op_sel_hi:[0,0]
	v_pk_lshrrev_b16 v36, 8, v36 op_sel:[1,1] op_sel_hi:[0,1]
	v_lshrrev_b32_e32 v191, 16, v34
	v_cvt_f16_i16_sdwa v34, sext(v34) dst_sel:DWORD dst_unused:UNUSED_PAD src0_sel:BYTE_0
	s_waitcnt vmcnt(0)
	v_mul_u32_u24_e32 v33, 0x10001, v33
	v_cvt_f16_i16_sdwa v191, sext(v191) dst_sel:DWORD dst_unused:UNUSED_PAD src0_sel:BYTE_0
	v_pack_b32_f16 v34, v34, v191
	v_lshrrev_b32_e32 v191, 16, v36
	v_cvt_f16_i16_sdwa v36, sext(v36) dst_sel:DWORD dst_unused:UNUSED_PAD src0_sel:BYTE_0
	v_pk_mul_f16 v34, v34, v33
	v_cvt_f16_i16_sdwa v191, sext(v191) dst_sel:DWORD dst_unused:UNUSED_PAD src0_sel:BYTE_0
	v_pack_b32_f16 v36, v36, v191
	v_pk_mul_f16 v33, v36, v33
	v_pk_fma_f16 v36, v34, v194, v37
	v_pk_fma_f16 v35, v33, v194, v35
	v_add_co_u32 v33, vcc_lo, v159, s24
	v_add_co_ci_u32_e64 v34, null, 0, v160, vcc_lo
	global_load_dword v37, v[33:34], off offset:2
	v_add_co_u32 v33, vcc_lo, v161, s24
	v_add_co_ci_u32_e64 v34, null, 0, v162, vcc_lo
	global_load_ushort v33, v[33:34], off
	s_waitcnt vmcnt(1)
	v_pk_lshrrev_b16 v34, 8, v37 op_sel:[1,0] op_sel_hi:[0,0]
	v_pk_lshrrev_b16 v37, 8, v37 op_sel:[1,1] op_sel_hi:[0,1]
	v_lshrrev_b32_e32 v191, 16, v34
	v_cvt_f16_i16_sdwa v34, sext(v34) dst_sel:DWORD dst_unused:UNUSED_PAD src0_sel:BYTE_0
	s_waitcnt vmcnt(0)
	v_mul_u32_u24_e32 v33, 0x10001, v33
	v_cvt_f16_i16_sdwa v191, sext(v191) dst_sel:DWORD dst_unused:UNUSED_PAD src0_sel:BYTE_0
	v_pack_b32_f16 v34, v34, v191
	v_lshrrev_b32_e32 v191, 16, v37
	v_cvt_f16_i16_sdwa v37, sext(v37) dst_sel:DWORD dst_unused:UNUSED_PAD src0_sel:BYTE_0
	v_pk_mul_f16 v34, v34, v33
	v_cvt_f16_i16_sdwa v191, sext(v191) dst_sel:DWORD dst_unused:UNUSED_PAD src0_sel:BYTE_0
	v_pk_fma_f16 v36, v34, v197, v36
	v_pack_b32_f16 v37, v37, v191
	v_pk_mul_f16 v33, v37, v33
	v_pk_fma_f16 v35, v33, v197, v35
	v_add_co_u32 v33, vcc_lo, v155, s24
	v_add_co_ci_u32_e64 v34, null, 0, v156, vcc_lo
	global_load_dword v37, v[33:34], off offset:2
	v_add_co_u32 v33, vcc_lo, v157, s24
	v_add_co_ci_u32_e64 v34, null, 0, v158, vcc_lo
	global_load_ushort v33, v[33:34], off
	s_waitcnt vmcnt(1)
	v_pk_lshrrev_b16 v34, 8, v37 op_sel:[1,0] op_sel_hi:[0,0]
	v_pk_lshrrev_b16 v37, 8, v37 op_sel:[1,1] op_sel_hi:[0,1]
	v_lshrrev_b32_e32 v191, 16, v34
	v_cvt_f16_i16_sdwa v34, sext(v34) dst_sel:DWORD dst_unused:UNUSED_PAD src0_sel:BYTE_0
	s_waitcnt vmcnt(0)
	v_mul_u32_u24_e32 v33, 0x10001, v33
	v_cvt_f16_i16_sdwa v191, sext(v191) dst_sel:DWORD dst_unused:UNUSED_PAD src0_sel:BYTE_0
	v_pack_b32_f16 v34, v34, v191
	v_lshrrev_b32_e32 v191, 16, v37
	v_cvt_f16_i16_sdwa v37, sext(v37) dst_sel:DWORD dst_unused:UNUSED_PAD src0_sel:BYTE_0
	v_pk_mul_f16 v34, v34, v33
	v_cvt_f16_i16_sdwa v191, sext(v191) dst_sel:DWORD dst_unused:UNUSED_PAD src0_sel:BYTE_0
	v_pk_fma_f16 v36, v34, v199, v36
	v_pack_b32_f16 v37, v37, v191
	v_pk_mul_f16 v33, v37, v33
	;; [unrolled: 23-line block ×15, first 2 shown]
	v_pk_fma_f16 v13, v11, v13, v33
	v_add_co_u32 v11, vcc_lo, v99, s24
	v_add_co_ci_u32_e64 v12, null, 0, v100, vcc_lo
	global_load_dword v33, v[11:12], off offset:2
	v_add_co_u32 v11, vcc_lo, v101, s24
	v_add_co_ci_u32_e64 v12, null, 0, v102, vcc_lo
	global_load_ushort v11, v[11:12], off
	s_waitcnt vmcnt(1)
	v_pk_lshrrev_b16 v12, 8, v33 op_sel:[1,0] op_sel_hi:[0,0]
	v_pk_lshrrev_b16 v33, 8, v33 op_sel:[1,1] op_sel_hi:[0,1]
	v_lshrrev_b32_e32 v35, 16, v12
	v_cvt_f16_i16_sdwa v12, sext(v12) dst_sel:DWORD dst_unused:UNUSED_PAD src0_sel:BYTE_0
	s_waitcnt vmcnt(0)
	v_mul_u32_u24_e32 v11, 0x10001, v11
	v_cvt_f16_i16_sdwa v35, sext(v35) dst_sel:DWORD dst_unused:UNUSED_PAD src0_sel:BYTE_0
	v_pack_b32_f16 v12, v12, v35
	v_lshrrev_b32_e32 v35, 16, v33
	v_cvt_f16_i16_sdwa v33, sext(v33) dst_sel:DWORD dst_unused:UNUSED_PAD src0_sel:BYTE_0
	v_pk_mul_f16 v12, v12, v11
	v_cvt_f16_i16_sdwa v35, sext(v35) dst_sel:DWORD dst_unused:UNUSED_PAD src0_sel:BYTE_0
	v_pack_b32_f16 v33, v33, v35
	v_pk_mul_f16 v11, v33, v11
	v_pk_fma_f16 v33, v12, v208, v34
	v_pk_fma_f16 v13, v11, v208, v13
	v_add_co_u32 v11, vcc_lo, v95, s24
	v_add_co_ci_u32_e64 v12, null, 0, v96, vcc_lo
	global_load_dword v34, v[11:12], off offset:2
	v_add_co_u32 v11, vcc_lo, v97, s24
	v_add_co_ci_u32_e64 v12, null, 0, v98, vcc_lo
	global_load_ushort v11, v[11:12], off
	s_waitcnt vmcnt(1)
	v_pk_lshrrev_b16 v12, 8, v34 op_sel:[1,0] op_sel_hi:[0,0]
	v_pk_lshrrev_b16 v34, 8, v34 op_sel:[1,1] op_sel_hi:[0,1]
	v_lshrrev_b32_e32 v35, 16, v12
	v_cvt_f16_i16_sdwa v12, sext(v12) dst_sel:DWORD dst_unused:UNUSED_PAD src0_sel:BYTE_0
	s_waitcnt vmcnt(0)
	v_mul_u32_u24_e32 v11, 0x10001, v11
	v_cvt_f16_i16_sdwa v35, sext(v35) dst_sel:DWORD dst_unused:UNUSED_PAD src0_sel:BYTE_0
	v_pack_b32_f16 v12, v12, v35
	v_lshrrev_b32_e32 v35, 16, v34
	v_cvt_f16_i16_sdwa v34, sext(v34) dst_sel:DWORD dst_unused:UNUSED_PAD src0_sel:BYTE_0
	v_pk_mul_f16 v12, v12, v11
	v_cvt_f16_i16_sdwa v35, sext(v35) dst_sel:DWORD dst_unused:UNUSED_PAD src0_sel:BYTE_0
	v_pk_fma_f16 v33, v12, v210, v33
	v_pack_b32_f16 v34, v34, v35
	v_pk_mul_f16 v11, v34, v11
	v_pk_fma_f16 v13, v11, v210, v13
	v_add_co_u32 v11, vcc_lo, v91, s24
	v_add_co_ci_u32_e64 v12, null, 0, v92, vcc_lo
	global_load_dword v34, v[11:12], off offset:2
	v_add_co_u32 v11, vcc_lo, v93, s24
	v_add_co_ci_u32_e64 v12, null, 0, v94, vcc_lo
	global_load_ushort v11, v[11:12], off
	s_waitcnt vmcnt(1)
	v_pk_lshrrev_b16 v12, 8, v34 op_sel:[1,0] op_sel_hi:[0,0]
	v_pk_lshrrev_b16 v34, 8, v34 op_sel:[1,1] op_sel_hi:[0,1]
	v_lshrrev_b32_e32 v35, 16, v12
	v_cvt_f16_i16_sdwa v12, sext(v12) dst_sel:DWORD dst_unused:UNUSED_PAD src0_sel:BYTE_0
	s_waitcnt vmcnt(0)
	v_mul_u32_u24_e32 v11, 0x10001, v11
	v_cvt_f16_i16_sdwa v35, sext(v35) dst_sel:DWORD dst_unused:UNUSED_PAD src0_sel:BYTE_0
	v_pack_b32_f16 v12, v12, v35
	v_lshrrev_b32_e32 v35, 16, v34
	v_cvt_f16_i16_sdwa v34, sext(v34) dst_sel:DWORD dst_unused:UNUSED_PAD src0_sel:BYTE_0
	v_pk_mul_f16 v12, v12, v11
	v_cvt_f16_i16_sdwa v35, sext(v35) dst_sel:DWORD dst_unused:UNUSED_PAD src0_sel:BYTE_0
	v_pk_fma_f16 v33, v12, v213, v33
	v_pack_b32_f16 v34, v34, v35
	v_pk_mul_f16 v11, v34, v11
	v_pk_fma_f16 v13, v11, v213, v13
	v_add_co_u32 v11, vcc_lo, v87, s24
	v_add_co_ci_u32_e64 v12, null, 0, v88, vcc_lo
	global_load_dword v34, v[11:12], off offset:2
	v_add_co_u32 v11, vcc_lo, v89, s24
	v_add_co_ci_u32_e64 v12, null, 0, v90, vcc_lo
	global_load_ushort v11, v[11:12], off
	s_waitcnt vmcnt(1)
	v_pk_lshrrev_b16 v12, 8, v34 op_sel:[1,0] op_sel_hi:[0,0]
	v_pk_lshrrev_b16 v34, 8, v34 op_sel:[1,1] op_sel_hi:[0,1]
	v_lshrrev_b32_e32 v35, 16, v12
	v_cvt_f16_i16_sdwa v12, sext(v12) dst_sel:DWORD dst_unused:UNUSED_PAD src0_sel:BYTE_0
	s_waitcnt vmcnt(0)
	v_mul_u32_u24_e32 v11, 0x10001, v11
	v_cvt_f16_i16_sdwa v35, sext(v35) dst_sel:DWORD dst_unused:UNUSED_PAD src0_sel:BYTE_0
	v_pack_b32_f16 v12, v12, v35
	v_lshrrev_b32_e32 v35, 16, v34
	v_cvt_f16_i16_sdwa v34, sext(v34) dst_sel:DWORD dst_unused:UNUSED_PAD src0_sel:BYTE_0
	v_pk_mul_f16 v12, v12, v11
	v_cvt_f16_i16_sdwa v35, sext(v35) dst_sel:DWORD dst_unused:UNUSED_PAD src0_sel:BYTE_0
	v_pk_fma_f16 v33, v12, v215, v33
	v_pack_b32_f16 v34, v34, v35
	v_pk_mul_f16 v11, v34, v11
	v_pk_fma_f16 v13, v11, v215, v13
	v_add_co_u32 v11, vcc_lo, v83, s24
	v_add_co_ci_u32_e64 v12, null, 0, v84, vcc_lo
	global_load_dword v34, v[11:12], off offset:2
	v_add_co_u32 v11, vcc_lo, v85, s24
	v_add_co_ci_u32_e64 v12, null, 0, v86, vcc_lo
	global_load_ushort v11, v[11:12], off
	s_waitcnt vmcnt(1)
	v_pk_lshrrev_b16 v12, 8, v34 op_sel:[1,0] op_sel_hi:[0,0]
	v_pk_lshrrev_b16 v34, 8, v34 op_sel:[1,1] op_sel_hi:[0,1]
	v_lshrrev_b32_e32 v35, 16, v12
	v_cvt_f16_i16_sdwa v12, sext(v12) dst_sel:DWORD dst_unused:UNUSED_PAD src0_sel:BYTE_0
	s_waitcnt vmcnt(0)
	v_mul_u32_u24_e32 v11, 0x10001, v11
	v_cvt_f16_i16_sdwa v35, sext(v35) dst_sel:DWORD dst_unused:UNUSED_PAD src0_sel:BYTE_0
	v_pack_b32_f16 v12, v12, v35
	v_lshrrev_b32_e32 v35, 16, v34
	v_cvt_f16_i16_sdwa v34, sext(v34) dst_sel:DWORD dst_unused:UNUSED_PAD src0_sel:BYTE_0
	v_pk_mul_f16 v12, v12, v11
	v_cvt_f16_i16_sdwa v35, sext(v35) dst_sel:DWORD dst_unused:UNUSED_PAD src0_sel:BYTE_0
	v_pk_fma_f16 v33, v12, v216, v33
	v_pack_b32_f16 v34, v34, v35
	v_pk_mul_f16 v11, v34, v11
	v_pk_fma_f16 v13, v11, v216, v13
	v_add_co_u32 v11, vcc_lo, v79, s24
	v_add_co_ci_u32_e64 v12, null, 0, v80, vcc_lo
	global_load_dword v34, v[11:12], off offset:2
	v_add_co_u32 v11, vcc_lo, v81, s24
	v_add_co_ci_u32_e64 v12, null, 0, v82, vcc_lo
	global_load_ushort v11, v[11:12], off
	s_waitcnt vmcnt(1)
	v_pk_lshrrev_b16 v12, 8, v34 op_sel:[1,0] op_sel_hi:[0,0]
	v_pk_lshrrev_b16 v34, 8, v34 op_sel:[1,1] op_sel_hi:[0,1]
	v_lshrrev_b32_e32 v35, 16, v12
	v_cvt_f16_i16_sdwa v12, sext(v12) dst_sel:DWORD dst_unused:UNUSED_PAD src0_sel:BYTE_0
	s_waitcnt vmcnt(0)
	v_mul_u32_u24_e32 v11, 0x10001, v11
	v_cvt_f16_i16_sdwa v35, sext(v35) dst_sel:DWORD dst_unused:UNUSED_PAD src0_sel:BYTE_0
	v_pack_b32_f16 v12, v12, v35
	v_lshrrev_b32_e32 v35, 16, v34
	v_cvt_f16_i16_sdwa v34, sext(v34) dst_sel:DWORD dst_unused:UNUSED_PAD src0_sel:BYTE_0
	v_pk_mul_f16 v12, v12, v11
	v_cvt_f16_i16_sdwa v35, sext(v35) dst_sel:DWORD dst_unused:UNUSED_PAD src0_sel:BYTE_0
	v_pk_fma_f16 v33, v12, v217, v33
	v_pack_b32_f16 v34, v34, v35
	v_pk_mul_f16 v11, v34, v11
	v_pk_fma_f16 v13, v11, v217, v13
	v_add_co_u32 v11, vcc_lo, v75, s24
	v_add_co_ci_u32_e64 v12, null, 0, v76, vcc_lo
	global_load_dword v34, v[11:12], off offset:2
	v_add_co_u32 v11, vcc_lo, v77, s24
	v_add_co_ci_u32_e64 v12, null, 0, v78, vcc_lo
	v_add_co_u32 v51, vcc_lo, v51, s9
	v_add_co_ci_u32_e64 v52, null, 0, v52, vcc_lo
	global_load_ushort v11, v[11:12], off
	v_add_co_u32 v30, vcc_lo, v30, s14
	v_add_co_ci_u32_e64 v31, null, s15, v31, vcc_lo
	v_add_co_u32 v53, vcc_lo, v53, s10
	v_add_co_ci_u32_e64 v54, null, 0, v54, vcc_lo
	;; [unrolled: 2-line block ×68, first 2 shown]
	s_waitcnt vmcnt(1)
	v_pk_lshrrev_b16 v12, 8, v34 op_sel:[1,0] op_sel_hi:[0,0]
	v_pk_lshrrev_b16 v34, 8, v34 op_sel:[1,1] op_sel_hi:[0,1]
	v_lshrrev_b32_e32 v35, 16, v12
	v_cvt_f16_i16_sdwa v12, sext(v12) dst_sel:DWORD dst_unused:UNUSED_PAD src0_sel:BYTE_0
	s_waitcnt vmcnt(0)
	v_mul_u32_u24_e32 v11, 0x10001, v11
	v_cvt_f16_i16_sdwa v35, sext(v35) dst_sel:DWORD dst_unused:UNUSED_PAD src0_sel:BYTE_0
	v_pack_b32_f16 v12, v12, v35
	v_lshrrev_b32_e32 v35, 16, v34
	v_cvt_f16_i16_sdwa v34, sext(v34) dst_sel:DWORD dst_unused:UNUSED_PAD src0_sel:BYTE_0
	v_pk_mul_f16 v12, v12, v11
	v_cvt_f16_i16_sdwa v35, sext(v35) dst_sel:DWORD dst_unused:UNUSED_PAD src0_sel:BYTE_0
	v_pk_fma_f16 v192, v12, v10, v33
	v_pack_b32_f16 v34, v34, v35
	v_pk_mul_f16 v11, v34, v11
	v_pk_fma_f16 v191, v11, v10, v13
	s_cbranch_scc1 .LBB14_18
; %bb.16:                               ;   in Loop: Header=BB14_11 Depth=1
	v_mov_b32_e32 v193, v32
	s_branch .LBB14_11
.LBB14_17:
	v_mov_b32_e32 v192, 0
	v_mov_b32_e32 v32, 0xfeffffff
	;; [unrolled: 1-line block ×3, first 2 shown]
.LBB14_18:
	v_or_b32_e32 v2, s7, v1
	s_cmp_lg_u64 s[16:17], 0
	s_cselect_b32 s1, -1, 0
	v_cmp_eq_u32_e32 vcc_lo, 0, v2
	s_and_b32 s2, vcc_lo, s1
	s_and_saveexec_b32 s1, s2
	s_cbranch_execz .LBB14_20
; %bb.19:
	s_lshl_b64 s[2:3], s[30:31], 2
	v_max_f32_e32 v2, v32, v32
	s_add_u32 s2, s16, s2
	s_addc_u32 s3, s17, s3
	s_load_dword s2, s[2:3], 0x0
	s_waitcnt lgkmcnt(0)
	v_max_f32_e64 v3, s2, s2
	v_max_f32_e32 v2, v2, v3
	v_sub_f32_e32 v3, v32, v2
	v_sub_f32_e32 v4, s2, v2
	v_mov_b32_e32 v32, v2
	v_mul_f32_e32 v5, 0x3fb8aa3b, v3
	v_mul_f32_e32 v6, 0x3fb8aa3b, v4
	v_cmp_ngt_f32_e32 vcc_lo, 0xc2ce8ed0, v3
	v_fma_f32 v7, 0x3fb8aa3b, v3, -v5
	v_rndne_f32_e32 v8, v5
	v_fma_f32 v9, 0x3fb8aa3b, v4, -v6
	v_rndne_f32_e32 v10, v6
	v_fmac_f32_e32 v7, 0x32a5705f, v3
	v_sub_f32_e32 v5, v5, v8
	v_fmac_f32_e32 v9, 0x32a5705f, v4
	v_sub_f32_e32 v6, v6, v10
	v_add_f32_e32 v5, v5, v7
	v_cvt_i32_f32_e32 v7, v8
	v_add_f32_e32 v6, v6, v9
	v_cvt_i32_f32_e32 v8, v10
	v_exp_f32_e32 v5, v5
	v_exp_f32_e32 v6, v6
	v_ldexp_f32 v5, v5, v7
	v_ldexp_f32 v6, v6, v8
	v_cndmask_b32_e32 v5, 0, v5, vcc_lo
	v_cmp_ngt_f32_e32 vcc_lo, 0xc2ce8ed0, v4
	v_cndmask_b32_e32 v6, 0, v6, vcc_lo
	v_cmp_nlt_f32_e32 vcc_lo, 0x42b17218, v3
	v_cndmask_b32_e32 v3, 0x7f800000, v5, vcc_lo
	v_cmp_nlt_f32_e32 vcc_lo, 0x42b17218, v4
	v_mov_b32_e32 v5, 0x10001
	v_cndmask_b32_e32 v4, 0x7f800000, v6, vcc_lo
	v_cmp_eq_u32_e32 vcc_lo, 0, v0
	v_cvt_f16_f32_e32 v6, v3
	v_cndmask_b32_e32 v4, 0, v4, vcc_lo
	v_mul_u32_u24_sdwa v5, v6, v5 dst_sel:DWORD dst_unused:UNUSED_PAD src0_sel:WORD_0 src1_sel:DWORD
	v_fmac_f32_e32 v4, v44, v3
	v_pk_mul_f16 v192, v192, v5
	v_pk_mul_f16 v191, v191, v5
	v_mov_b32_e32 v44, v4
.LBB14_20:
	s_or_b32 exec_lo, exec_lo, s1
	s_and_saveexec_b32 s1, s0
	s_cbranch_execz .LBB14_22
; %bb.21:
	v_mov_b32_e32 v2, 0xfeffffff
	v_mov_b32_e32 v3, 0
	v_add_nc_u32_e32 v4, 0x400, v42
	ds_write2_b32 v4, v2, v3 offset1:32
.LBB14_22:
	s_or_b32 exec_lo, exec_lo, s1
	v_cmp_eq_u32_e32 vcc_lo, 0, v0
	v_lshlrev_b32_e32 v4, 2, v1
	s_waitcnt lgkmcnt(0)
	s_barrier
	buffer_gl0_inv
	s_and_saveexec_b32 s0, vcc_lo
; %bb.23:
	ds_write_b32 v4, v32 offset:1024
; %bb.24:
	s_or_b32 exec_lo, exec_lo, s0
	s_waitcnt lgkmcnt(0)
	s_barrier
	buffer_gl0_inv
	ds_read_b32 v2, v42 offset:1024
	v_xor_b32_e32 v3, 16, v38
	v_xor_b32_e32 v6, 8, v38
	s_load_dword s1, s[4:5], 0xd4
	v_lshlrev_b32_e32 v0, 3, v0
	v_cmp_gt_i32_e64 s0, 32, v3
	v_lshl_add_u32 v0, v1, 8, v0
	v_cndmask_b32_e64 v3, v38, v3, s0
	v_cmp_gt_i32_e64 s0, 32, v6
	v_lshlrev_b32_e32 v3, 2, v3
	v_cndmask_b32_e64 v6, v38, v6, s0
	s_waitcnt lgkmcnt(0)
	ds_bpermute_b32 v5, v3, v2
	v_max_f32_e32 v2, v2, v2
	s_waitcnt lgkmcnt(0)
	v_max_f32_e32 v7, v5, v5
	v_lshlrev_b32_e32 v5, 2, v6
	v_max_f32_e32 v2, v2, v7
	v_xor_b32_e32 v7, 4, v38
	ds_bpermute_b32 v6, v5, v2
	v_cmp_gt_i32_e64 s0, 32, v7
	v_cndmask_b32_e64 v7, v38, v7, s0
	s_waitcnt lgkmcnt(0)
	v_max_f32_e32 v8, v6, v6
	v_lshlrev_b32_e32 v6, 2, v7
	v_max_f32_e32 v2, v2, v8
	v_xor_b32_e32 v8, 2, v38
	ds_bpermute_b32 v7, v6, v2
	v_cmp_gt_i32_e64 s0, 32, v8
	v_cndmask_b32_e64 v8, v38, v8, s0
	s_waitcnt lgkmcnt(0)
	v_max_f32_e32 v9, v7, v7
	v_lshlrev_b32_e32 v7, 2, v8
	v_max_f32_e32 v2, v2, v9
	v_xor_b32_e32 v9, 1, v38
	ds_bpermute_b32 v8, v7, v2
	v_cmp_gt_i32_e64 s0, 32, v9
	v_cndmask_b32_e64 v9, v38, v9, s0
	s_waitcnt lgkmcnt(0)
	v_max_f32_e32 v10, v8, v8
	v_lshlrev_b32_e32 v8, 2, v9
	v_max_f32_e32 v2, v2, v10
	ds_bpermute_b32 v9, v8, v2
	s_waitcnt lgkmcnt(0)
	v_max_f32_e32 v9, v9, v9
	v_max_f32_e32 v2, v2, v9
	v_sub_f32_e32 v9, v32, v2
	v_mul_f32_e32 v10, 0x3fb8aa3b, v9
	v_cmp_ngt_f32_e64 s0, 0xc2ce8ed0, v9
	v_fma_f32 v11, 0x3fb8aa3b, v9, -v10
	v_rndne_f32_e32 v12, v10
	v_fmamk_f32 v11, v9, 0x32a5705f, v11
	v_sub_f32_e32 v10, v10, v12
	v_add_f32_e32 v10, v10, v11
	v_cvt_i32_f32_e32 v11, v12
	v_mov_b32_e32 v12, 0x10001
	v_exp_f32_e32 v10, v10
	v_ldexp_f32 v10, v10, v11
	v_cndmask_b32_e64 v10, 0, v10, s0
	v_cmp_nlt_f32_e64 s0, 0x42b17218, v9
	v_cndmask_b32_e64 v11, 0x7f800000, v10, s0
	v_mul_f32_e32 v9, v44, v11
	ds_bpermute_b32 v9, v3, v9
	s_waitcnt lgkmcnt(0)
	v_fmac_f32_e32 v9, v44, v11
	v_cvt_f16_f32_e32 v11, v11
	ds_bpermute_b32 v10, v5, v9
	v_mul_u32_u24_sdwa v12, v11, v12 dst_sel:DWORD dst_unused:UNUSED_PAD src0_sel:WORD_0 src1_sel:DWORD
	v_pk_mul_f16 v11, v192, v12
	v_pk_mul_f16 v12, v191, v12
	ds_write_b64 v0, v[11:12]
	s_waitcnt lgkmcnt(1)
	v_add_f32_e32 v9, v9, v10
	ds_bpermute_b32 v10, v6, v9
	s_waitcnt lgkmcnt(0)
	v_add_f32_e32 v9, v9, v10
	ds_bpermute_b32 v10, v7, v9
	;; [unrolled: 3-line block ×3, first 2 shown]
	s_and_saveexec_b32 s0, vcc_lo
	s_cbranch_execz .LBB14_26
; %bb.25:
	s_waitcnt lgkmcnt(0)
	v_add_f32_e32 v0, v9, v10
	ds_write_b32 v4, v0 offset:1152
.LBB14_26:
	s_or_b32 exec_lo, exec_lo, s0
	s_waitcnt lgkmcnt(0)
	s_barrier
	buffer_gl0_inv
	ds_read_b32 v0, v42 offset:1152
	ds_read_u16 v1, v41 offset:768
	s_mul_i32 s0, s33, s28
	s_mov_b32 s3, 0
	s_add_i32 s0, s0, s6
	s_mul_i32 s0, s0, s29
	s_add_i32 s0, s0, s30
	s_mul_i32 s0, s1, s0
	s_add_i32 s2, s0, s7
	s_cmp_eq_u32 s1, 1
	s_waitcnt lgkmcnt(1)
	ds_bpermute_b32 v3, v3, v0
	s_waitcnt lgkmcnt(1)
	v_cvt_f32_f16_e32 v1, v1
	s_waitcnt lgkmcnt(0)
	v_add_f32_e32 v0, v0, v3
	ds_bpermute_b32 v3, v5, v0
	s_waitcnt lgkmcnt(0)
	v_add_f32_e32 v0, v0, v3
	ds_bpermute_b32 v3, v6, v0
	ds_read_u16 v4, v41
	ds_read_u16 v5, v41 offset:256
	ds_read_u16 v6, v41 offset:512
	s_waitcnt lgkmcnt(1)
	v_cvt_f32_f16_e32 v5, v5
	v_add_f32_e32 v0, v0, v3
	s_waitcnt lgkmcnt(0)
	v_cvt_f32_f16_e32 v6, v6
	ds_bpermute_b32 v3, v7, v0
	s_waitcnt lgkmcnt(0)
	v_add_f32_e32 v0, v0, v3
	v_cvt_f32_f16_e32 v3, v4
	ds_bpermute_b32 v4, v8, v0
	v_add_f32_e32 v3, 0, v3
	v_add_f32_e32 v3, v3, v5
	;; [unrolled: 1-line block ×4, first 2 shown]
	s_waitcnt lgkmcnt(0)
	v_add_f32_e32 v3, v0, v4
	v_div_scale_f32 v0, null, v3, v3, v6
	v_div_scale_f32 v5, vcc_lo, v6, v3, v6
	v_rcp_f32_e32 v4, v0
	v_fma_f32 v1, -v0, v4, 1.0
	v_fmac_f32_e32 v4, v1, v4
	v_mul_f32_e32 v7, v5, v4
	v_fma_f32 v1, -v0, v7, v5
	v_fmac_f32_e32 v7, v1, v4
	v_mov_b32_e32 v1, 0
	v_fma_f32 v5, -v0, v7, v5
	v_lshl_or_b32 v0, s2, 7, v40
	v_div_fmas_f32 v7, v5, v4, v7
	v_lshlrev_b64 v[4:5], 2, v[0:1]
	v_cmp_eq_u32_e32 vcc_lo, 0, v40
	v_div_fixup_f32 v0, v7, v3, v6
	v_add_co_u32 v4, s0, s20, v4
	v_add_co_ci_u32_e64 v5, null, s21, v5, s0
	s_cselect_b32 s0, -1, 0
	s_cmp_lg_u32 s1, 1
	v_cndmask_b32_e64 v0, v6, v0, s0
	s_cselect_b32 s0, -1, 0
	s_and_b32 s0, vcc_lo, s0
	global_store_dword v[4:5], v0, off
	s_and_saveexec_b32 s1, s0
	s_cbranch_execz .LBB14_28
; %bb.27:
	s_lshl_b64 s[0:1], s[2:3], 3
	s_add_u32 s0, s22, s0
	s_addc_u32 s1, s23, s1
	global_store_dwordx2 v1, v[2:3], s[0:1]
.LBB14_28:
	s_endpgm
	.section	.rodata,"a",@progbits
	.p2align	6, 0x0
	.amdhsa_kernel _ZL18flash_attn_ext_vecILi128ELi1EL9ggml_type7ELS0_8ELb0EEvPKcS2_S2_S2_S2_PKiPfP15HIP_vector_typeIfLj2EEffffjfiS6_IjLj3EEiiiiiiiiiiiliiliiiiil
		.amdhsa_group_segment_fixed_size 1280
		.amdhsa_private_segment_fixed_size 0
		.amdhsa_kernarg_size 464
		.amdhsa_user_sgpr_count 6
		.amdhsa_user_sgpr_private_segment_buffer 1
		.amdhsa_user_sgpr_dispatch_ptr 0
		.amdhsa_user_sgpr_queue_ptr 0
		.amdhsa_user_sgpr_kernarg_segment_ptr 1
		.amdhsa_user_sgpr_dispatch_id 0
		.amdhsa_user_sgpr_flat_scratch_init 0
		.amdhsa_user_sgpr_private_segment_size 0
		.amdhsa_wavefront_size32 1
		.amdhsa_uses_dynamic_stack 0
		.amdhsa_system_sgpr_private_segment_wavefront_offset 0
		.amdhsa_system_sgpr_workgroup_id_x 1
		.amdhsa_system_sgpr_workgroup_id_y 1
		.amdhsa_system_sgpr_workgroup_id_z 1
		.amdhsa_system_sgpr_workgroup_info 0
		.amdhsa_system_vgpr_workitem_id 1
		.amdhsa_next_free_vgpr 226
		.amdhsa_next_free_sgpr 51
		.amdhsa_reserve_vcc 1
		.amdhsa_reserve_flat_scratch 0
		.amdhsa_float_round_mode_32 0
		.amdhsa_float_round_mode_16_64 0
		.amdhsa_float_denorm_mode_32 3
		.amdhsa_float_denorm_mode_16_64 3
		.amdhsa_dx10_clamp 1
		.amdhsa_ieee_mode 1
		.amdhsa_fp16_overflow 0
		.amdhsa_workgroup_processor_mode 1
		.amdhsa_memory_ordered 1
		.amdhsa_forward_progress 1
		.amdhsa_shared_vgpr_count 0
		.amdhsa_exception_fp_ieee_invalid_op 0
		.amdhsa_exception_fp_denorm_src 0
		.amdhsa_exception_fp_ieee_div_zero 0
		.amdhsa_exception_fp_ieee_overflow 0
		.amdhsa_exception_fp_ieee_underflow 0
		.amdhsa_exception_fp_ieee_inexact 0
		.amdhsa_exception_int_div_zero 0
	.end_amdhsa_kernel
	.section	.text._ZL18flash_attn_ext_vecILi128ELi1EL9ggml_type7ELS0_8ELb0EEvPKcS2_S2_S2_S2_PKiPfP15HIP_vector_typeIfLj2EEffffjfiS6_IjLj3EEiiiiiiiiiiiliiliiiiil,"axG",@progbits,_ZL18flash_attn_ext_vecILi128ELi1EL9ggml_type7ELS0_8ELb0EEvPKcS2_S2_S2_S2_PKiPfP15HIP_vector_typeIfLj2EEffffjfiS6_IjLj3EEiiiiiiiiiiiliiliiiiil,comdat
.Lfunc_end14:
	.size	_ZL18flash_attn_ext_vecILi128ELi1EL9ggml_type7ELS0_8ELb0EEvPKcS2_S2_S2_S2_PKiPfP15HIP_vector_typeIfLj2EEffffjfiS6_IjLj3EEiiiiiiiiiiiliiliiiiil, .Lfunc_end14-_ZL18flash_attn_ext_vecILi128ELi1EL9ggml_type7ELS0_8ELb0EEvPKcS2_S2_S2_S2_PKiPfP15HIP_vector_typeIfLj2EEffffjfiS6_IjLj3EEiiiiiiiiiiiliiliiiiil
                                        ; -- End function
	.set _ZL18flash_attn_ext_vecILi128ELi1EL9ggml_type7ELS0_8ELb0EEvPKcS2_S2_S2_S2_PKiPfP15HIP_vector_typeIfLj2EEffffjfiS6_IjLj3EEiiiiiiiiiiiliiliiiiil.num_vgpr, 226
	.set _ZL18flash_attn_ext_vecILi128ELi1EL9ggml_type7ELS0_8ELb0EEvPKcS2_S2_S2_S2_PKiPfP15HIP_vector_typeIfLj2EEffffjfiS6_IjLj3EEiiiiiiiiiiiliiliiiiil.num_agpr, 0
	.set _ZL18flash_attn_ext_vecILi128ELi1EL9ggml_type7ELS0_8ELb0EEvPKcS2_S2_S2_S2_PKiPfP15HIP_vector_typeIfLj2EEffffjfiS6_IjLj3EEiiiiiiiiiiiliiliiiiil.numbered_sgpr, 51
	.set _ZL18flash_attn_ext_vecILi128ELi1EL9ggml_type7ELS0_8ELb0EEvPKcS2_S2_S2_S2_PKiPfP15HIP_vector_typeIfLj2EEffffjfiS6_IjLj3EEiiiiiiiiiiiliiliiiiil.num_named_barrier, 0
	.set _ZL18flash_attn_ext_vecILi128ELi1EL9ggml_type7ELS0_8ELb0EEvPKcS2_S2_S2_S2_PKiPfP15HIP_vector_typeIfLj2EEffffjfiS6_IjLj3EEiiiiiiiiiiiliiliiiiil.private_seg_size, 0
	.set _ZL18flash_attn_ext_vecILi128ELi1EL9ggml_type7ELS0_8ELb0EEvPKcS2_S2_S2_S2_PKiPfP15HIP_vector_typeIfLj2EEffffjfiS6_IjLj3EEiiiiiiiiiiiliiliiiiil.uses_vcc, 1
	.set _ZL18flash_attn_ext_vecILi128ELi1EL9ggml_type7ELS0_8ELb0EEvPKcS2_S2_S2_S2_PKiPfP15HIP_vector_typeIfLj2EEffffjfiS6_IjLj3EEiiiiiiiiiiiliiliiiiil.uses_flat_scratch, 0
	.set _ZL18flash_attn_ext_vecILi128ELi1EL9ggml_type7ELS0_8ELb0EEvPKcS2_S2_S2_S2_PKiPfP15HIP_vector_typeIfLj2EEffffjfiS6_IjLj3EEiiiiiiiiiiiliiliiiiil.has_dyn_sized_stack, 0
	.set _ZL18flash_attn_ext_vecILi128ELi1EL9ggml_type7ELS0_8ELb0EEvPKcS2_S2_S2_S2_PKiPfP15HIP_vector_typeIfLj2EEffffjfiS6_IjLj3EEiiiiiiiiiiiliiliiiiil.has_recursion, 0
	.set _ZL18flash_attn_ext_vecILi128ELi1EL9ggml_type7ELS0_8ELb0EEvPKcS2_S2_S2_S2_PKiPfP15HIP_vector_typeIfLj2EEffffjfiS6_IjLj3EEiiiiiiiiiiiliiliiiiil.has_indirect_call, 0
	.section	.AMDGPU.csdata,"",@progbits
; Kernel info:
; codeLenInByte = 17828
; TotalNumSgprs: 53
; NumVgprs: 226
; ScratchSize: 0
; MemoryBound: 0
; FloatMode: 240
; IeeeMode: 1
; LDSByteSize: 1280 bytes/workgroup (compile time only)
; SGPRBlocks: 0
; VGPRBlocks: 28
; NumSGPRsForWavesPerEU: 53
; NumVGPRsForWavesPerEU: 226
; Occupancy: 4
; WaveLimiterHint : 0
; COMPUTE_PGM_RSRC2:SCRATCH_EN: 0
; COMPUTE_PGM_RSRC2:USER_SGPR: 6
; COMPUTE_PGM_RSRC2:TRAP_HANDLER: 0
; COMPUTE_PGM_RSRC2:TGID_X_EN: 1
; COMPUTE_PGM_RSRC2:TGID_Y_EN: 1
; COMPUTE_PGM_RSRC2:TGID_Z_EN: 1
; COMPUTE_PGM_RSRC2:TIDIG_COMP_CNT: 1
	.section	.text._ZL33flash_attn_stream_k_fixup_uniformILi128ELi1ELi1EEvPfPK15HIP_vector_typeIfLj2EEiiiiiiS1_IjLj3EES5_S5_,"axG",@progbits,_ZL33flash_attn_stream_k_fixup_uniformILi128ELi1ELi1EEvPfPK15HIP_vector_typeIfLj2EEiiiiiiS1_IjLj3EES5_S5_,comdat
	.globl	_ZL33flash_attn_stream_k_fixup_uniformILi128ELi1ELi1EEvPfPK15HIP_vector_typeIfLj2EEiiiiiiS1_IjLj3EES5_S5_ ; -- Begin function _ZL33flash_attn_stream_k_fixup_uniformILi128ELi1ELi1EEvPfPK15HIP_vector_typeIfLj2EEiiiiiiS1_IjLj3EES5_S5_
	.p2align	8
	.type	_ZL33flash_attn_stream_k_fixup_uniformILi128ELi1ELi1EEvPfPK15HIP_vector_typeIfLj2EEiiiiiiS1_IjLj3EES5_S5_,@function
_ZL33flash_attn_stream_k_fixup_uniformILi128ELi1ELi1EEvPfPK15HIP_vector_typeIfLj2EEiiiiiiS1_IjLj3EES5_S5_: ; @_ZL33flash_attn_stream_k_fixup_uniformILi128ELi1ELi1EEvPfPK15HIP_vector_typeIfLj2EEiiiiiiS1_IjLj3EES5_S5_
; %bb.0:
	s_clause 0x1
	s_load_dwordx8 s[12:19], s[4:5], 0x1c
	s_load_dwordx4 s[0:3], s[4:5], 0x3c
	s_waitcnt lgkmcnt(0)
	s_mul_hi_u32 s9, s15, s6
	s_add_i32 s9, s6, s9
	s_lshr_b32 s9, s9, s16
	s_mul_i32 s10, s9, s17
	s_sub_i32 s16, s6, s10
	s_load_dwordx2 s[10:11], s[4:5], 0x10
	s_mul_hi_u32 s15, s16, s18
	s_add_i32 s15, s16, s15
	s_lshr_b32 s15, s15, s19
	s_mul_i32 s0, s15, s0
	s_sub_i32 s0, s16, s0
	s_mul_hi_u32 s1, s0, s1
	s_add_i32 s1, s0, s1
	s_lshr_b32 s17, s1, s2
	s_mul_i32 s1, s17, s3
	s_sub_i32 s16, s0, s1
	s_add_i32 s16, s16, s7
	s_waitcnt lgkmcnt(0)
	s_cmp_lt_i32 s16, s10
	s_cselect_b32 s0, -1, 0
	s_add_i32 s17, s17, s8
	s_cmp_lt_i32 s17, s13
	s_cselect_b32 s1, -1, 0
	s_and_b32 s0, s0, s1
	s_andn2_b32 vcc_lo, exec_lo, s0
	s_cbranch_vccnz .LBB15_6
; %bb.1:
	s_mul_i32 s9, s9, s10
	s_load_dwordx4 s[0:3], s[4:5], 0x0
	s_mul_i32 s15, s15, s13
	s_add_i32 s4, s16, s9
	s_add_i32 s5, s17, s15
	s_mul_i32 s4, s4, s11
	s_add_i32 s5, s5, s4
	s_mul_i32 s4, s14, s6
	v_lshl_or_b32 v1, s5, 7, v0
	s_add_i32 s6, s7, s8
	s_add_i32 s5, s4, s14
	;; [unrolled: 1-line block ×3, first 2 shown]
	v_ashrrev_i32_e32 v2, 31, v1
	v_lshlrev_b64 v[1:2], 2, v[1:2]
	s_waitcnt lgkmcnt(0)
	v_add_co_u32 v1, vcc_lo, s0, v1
	v_add_co_ci_u32_e64 v2, null, s1, v2, vcc_lo
	s_add_i32 s0, s7, -1
	s_ashr_i32 s1, s0, 31
	global_load_dword v5, v[1:2], off
	s_lshl_b64 s[0:1], s[0:1], 3
	s_add_u32 s0, s2, s0
	s_addc_u32 s1, s3, s1
	s_add_i32 s9, s5, -2
	s_load_dword s8, s[0:1], 0x4
	s_cmp_lt_i32 s9, s4
	s_cbranch_scc1 .LBB15_4
; %bb.2:
	s_load_dword s9, s[0:1], 0x0
	v_lshl_or_b32 v0, s7, 7, v0
	s_lshl_b32 s0, s12, 2
	s_waitcnt lgkmcnt(0)
	v_mov_b32_e32 v6, s8
	s_ashr_i32 s1, s0, 31
	s_lshl_b64 s[0:1], s[0:1], 2
	v_add_nc_u32_e32 v3, 0xffffff00, v0
	s_add_u32 s0, s2, s0
	s_addc_u32 s1, s3, s1
	s_add_i32 s5, s5, -1
	s_add_i32 s6, s6, s12
	v_mov_b32_e32 v0, s9
.LBB15_3:                               ; =>This Inner Loop Header: Depth=1
	v_ashrrev_i32_e32 v4, 31, v3
	s_add_i32 s5, s5, -1
	s_add_i32 s8, s5, s6
	s_ashr_i32 s9, s8, 31
	v_lshlrev_b64 v[7:8], 2, v[3:4]
	s_lshl_b64 s[8:9], s[8:9], 3
	v_add_nc_u32_e32 v3, 0xffffff80, v3
	s_add_u32 s8, s2, s8
	s_addc_u32 s9, s3, s9
	s_cmp_le_i32 s5, s4
	v_add_co_u32 v7, vcc_lo, s0, v7
	v_add_co_ci_u32_e64 v8, null, s1, v8, vcc_lo
	s_load_dwordx2 s[8:9], s[8:9], 0x0
	global_load_dword v4, v[7:8], off
	v_max_f32_e32 v7, v0, v0
	s_waitcnt lgkmcnt(0)
	v_max_f32_e64 v8, s8, s8
	v_max_f32_e32 v7, v7, v8
	v_sub_f32_e32 v8, s8, v7
	v_sub_f32_e32 v0, v0, v7
	v_mul_f32_e32 v9, 0x3fb8aa3b, v8
	v_mul_f32_e32 v12, 0x3fb8aa3b, v0
	v_cmp_ngt_f32_e32 vcc_lo, 0xc2ce8ed0, v8
	v_fma_f32 v10, 0x3fb8aa3b, v8, -v9
	v_rndne_f32_e32 v11, v9
	v_fma_f32 v13, 0x3fb8aa3b, v0, -v12
	v_rndne_f32_e32 v14, v12
	v_fmac_f32_e32 v10, 0x32a5705f, v8
	v_sub_f32_e32 v9, v9, v11
	v_fmac_f32_e32 v13, 0x32a5705f, v0
	v_cvt_i32_f32_e32 v11, v11
	v_add_f32_e32 v9, v9, v10
	v_sub_f32_e32 v10, v12, v14
	v_exp_f32_e32 v9, v9
	v_add_f32_e32 v10, v10, v13
	v_exp_f32_e32 v10, v10
	v_ldexp_f32 v9, v9, v11
	v_cvt_i32_f32_e32 v11, v14
	v_cndmask_b32_e32 v9, 0, v9, vcc_lo
	v_cmp_nlt_f32_e32 vcc_lo, 0x42b17218, v8
	v_ldexp_f32 v10, v10, v11
	v_mov_b32_e32 v11, v6
	v_cndmask_b32_e32 v9, 0x7f800000, v9, vcc_lo
	v_cmp_ngt_f32_e32 vcc_lo, 0xc2ce8ed0, v0
	v_cndmask_b32_e32 v10, 0, v10, vcc_lo
	v_cmp_le_f32_e32 vcc_lo, 0xc1a00000, v8
	v_cndmask_b32_e32 v8, 0, v9, vcc_lo
	v_cmp_nlt_f32_e32 vcc_lo, 0x42b17218, v0
	s_waitcnt vmcnt(1)
	v_mov_b32_e32 v9, v5
	v_cndmask_b32_e32 v5, 0x7f800000, v10, vcc_lo
	v_mul_f32_e32 v10, s9, v8
	v_cmp_le_f32_e32 vcc_lo, 0xc1a00000, v0
	v_mov_b32_e32 v0, v7
	v_mov_b32_e32 v6, v10
	v_cndmask_b32_e32 v12, 0, v5, vcc_lo
	v_fmac_f32_e32 v6, v11, v12
	s_waitcnt vmcnt(0)
	v_mul_f32_e32 v5, v4, v8
	v_fmac_f32_e32 v5, v9, v12
	s_cbranch_scc0 .LBB15_3
	s_branch .LBB15_5
.LBB15_4:
	s_waitcnt lgkmcnt(0)
	v_mov_b32_e32 v6, s8
.LBB15_5:
	s_waitcnt vmcnt(0)
	v_div_scale_f32 v0, null, v6, v6, v5
	v_rcp_f32_e32 v3, v0
	v_fma_f32 v4, -v0, v3, 1.0
	v_fmac_f32_e32 v3, v4, v3
	v_div_scale_f32 v4, vcc_lo, v5, v6, v5
	v_mul_f32_e32 v7, v4, v3
	v_fma_f32 v8, -v0, v7, v4
	v_fmac_f32_e32 v7, v8, v3
	v_fma_f32 v0, -v0, v7, v4
	v_div_fmas_f32 v0, v0, v3, v7
	v_div_fixup_f32 v0, v0, v6, v5
	global_store_dword v[1:2], v0, off
.LBB15_6:
	s_endpgm
	.section	.rodata,"a",@progbits
	.p2align	6, 0x0
	.amdhsa_kernel _ZL33flash_attn_stream_k_fixup_uniformILi128ELi1ELi1EEvPfPK15HIP_vector_typeIfLj2EEiiiiiiS1_IjLj3EES5_S5_
		.amdhsa_group_segment_fixed_size 0
		.amdhsa_private_segment_fixed_size 0
		.amdhsa_kernarg_size 76
		.amdhsa_user_sgpr_count 6
		.amdhsa_user_sgpr_private_segment_buffer 1
		.amdhsa_user_sgpr_dispatch_ptr 0
		.amdhsa_user_sgpr_queue_ptr 0
		.amdhsa_user_sgpr_kernarg_segment_ptr 1
		.amdhsa_user_sgpr_dispatch_id 0
		.amdhsa_user_sgpr_flat_scratch_init 0
		.amdhsa_user_sgpr_private_segment_size 0
		.amdhsa_wavefront_size32 1
		.amdhsa_uses_dynamic_stack 0
		.amdhsa_system_sgpr_private_segment_wavefront_offset 0
		.amdhsa_system_sgpr_workgroup_id_x 1
		.amdhsa_system_sgpr_workgroup_id_y 1
		.amdhsa_system_sgpr_workgroup_id_z 1
		.amdhsa_system_sgpr_workgroup_info 0
		.amdhsa_system_vgpr_workitem_id 0
		.amdhsa_next_free_vgpr 15
		.amdhsa_next_free_sgpr 20
		.amdhsa_reserve_vcc 1
		.amdhsa_reserve_flat_scratch 0
		.amdhsa_float_round_mode_32 0
		.amdhsa_float_round_mode_16_64 0
		.amdhsa_float_denorm_mode_32 3
		.amdhsa_float_denorm_mode_16_64 3
		.amdhsa_dx10_clamp 1
		.amdhsa_ieee_mode 1
		.amdhsa_fp16_overflow 0
		.amdhsa_workgroup_processor_mode 1
		.amdhsa_memory_ordered 1
		.amdhsa_forward_progress 1
		.amdhsa_shared_vgpr_count 0
		.amdhsa_exception_fp_ieee_invalid_op 0
		.amdhsa_exception_fp_denorm_src 0
		.amdhsa_exception_fp_ieee_div_zero 0
		.amdhsa_exception_fp_ieee_overflow 0
		.amdhsa_exception_fp_ieee_underflow 0
		.amdhsa_exception_fp_ieee_inexact 0
		.amdhsa_exception_int_div_zero 0
	.end_amdhsa_kernel
	.section	.text._ZL33flash_attn_stream_k_fixup_uniformILi128ELi1ELi1EEvPfPK15HIP_vector_typeIfLj2EEiiiiiiS1_IjLj3EES5_S5_,"axG",@progbits,_ZL33flash_attn_stream_k_fixup_uniformILi128ELi1ELi1EEvPfPK15HIP_vector_typeIfLj2EEiiiiiiS1_IjLj3EES5_S5_,comdat
.Lfunc_end15:
	.size	_ZL33flash_attn_stream_k_fixup_uniformILi128ELi1ELi1EEvPfPK15HIP_vector_typeIfLj2EEiiiiiiS1_IjLj3EES5_S5_, .Lfunc_end15-_ZL33flash_attn_stream_k_fixup_uniformILi128ELi1ELi1EEvPfPK15HIP_vector_typeIfLj2EEiiiiiiS1_IjLj3EES5_S5_
                                        ; -- End function
	.set _ZL33flash_attn_stream_k_fixup_uniformILi128ELi1ELi1EEvPfPK15HIP_vector_typeIfLj2EEiiiiiiS1_IjLj3EES5_S5_.num_vgpr, 15
	.set _ZL33flash_attn_stream_k_fixup_uniformILi128ELi1ELi1EEvPfPK15HIP_vector_typeIfLj2EEiiiiiiS1_IjLj3EES5_S5_.num_agpr, 0
	.set _ZL33flash_attn_stream_k_fixup_uniformILi128ELi1ELi1EEvPfPK15HIP_vector_typeIfLj2EEiiiiiiS1_IjLj3EES5_S5_.numbered_sgpr, 20
	.set _ZL33flash_attn_stream_k_fixup_uniformILi128ELi1ELi1EEvPfPK15HIP_vector_typeIfLj2EEiiiiiiS1_IjLj3EES5_S5_.num_named_barrier, 0
	.set _ZL33flash_attn_stream_k_fixup_uniformILi128ELi1ELi1EEvPfPK15HIP_vector_typeIfLj2EEiiiiiiS1_IjLj3EES5_S5_.private_seg_size, 0
	.set _ZL33flash_attn_stream_k_fixup_uniformILi128ELi1ELi1EEvPfPK15HIP_vector_typeIfLj2EEiiiiiiS1_IjLj3EES5_S5_.uses_vcc, 1
	.set _ZL33flash_attn_stream_k_fixup_uniformILi128ELi1ELi1EEvPfPK15HIP_vector_typeIfLj2EEiiiiiiS1_IjLj3EES5_S5_.uses_flat_scratch, 0
	.set _ZL33flash_attn_stream_k_fixup_uniformILi128ELi1ELi1EEvPfPK15HIP_vector_typeIfLj2EEiiiiiiS1_IjLj3EES5_S5_.has_dyn_sized_stack, 0
	.set _ZL33flash_attn_stream_k_fixup_uniformILi128ELi1ELi1EEvPfPK15HIP_vector_typeIfLj2EEiiiiiiS1_IjLj3EES5_S5_.has_recursion, 0
	.set _ZL33flash_attn_stream_k_fixup_uniformILi128ELi1ELi1EEvPfPK15HIP_vector_typeIfLj2EEiiiiiiS1_IjLj3EES5_S5_.has_indirect_call, 0
	.section	.AMDGPU.csdata,"",@progbits
; Kernel info:
; codeLenInByte = 776
; TotalNumSgprs: 22
; NumVgprs: 15
; ScratchSize: 0
; MemoryBound: 0
; FloatMode: 240
; IeeeMode: 1
; LDSByteSize: 0 bytes/workgroup (compile time only)
; SGPRBlocks: 0
; VGPRBlocks: 1
; NumSGPRsForWavesPerEU: 22
; NumVGPRsForWavesPerEU: 15
; Occupancy: 16
; WaveLimiterHint : 0
; COMPUTE_PGM_RSRC2:SCRATCH_EN: 0
; COMPUTE_PGM_RSRC2:USER_SGPR: 6
; COMPUTE_PGM_RSRC2:TRAP_HANDLER: 0
; COMPUTE_PGM_RSRC2:TGID_X_EN: 1
; COMPUTE_PGM_RSRC2:TGID_Y_EN: 1
; COMPUTE_PGM_RSRC2:TGID_Z_EN: 1
; COMPUTE_PGM_RSRC2:TIDIG_COMP_CNT: 0
	.section	.text._ZL33flash_attn_stream_k_fixup_generalILi128ELi1ELi1EEvPfPK15HIP_vector_typeIfLj2EEiiiiS1_IjLj3EES5_S5_S5_,"axG",@progbits,_ZL33flash_attn_stream_k_fixup_generalILi128ELi1ELi1EEvPfPK15HIP_vector_typeIfLj2EEiiiiS1_IjLj3EES5_S5_S5_,comdat
	.globl	_ZL33flash_attn_stream_k_fixup_generalILi128ELi1ELi1EEvPfPK15HIP_vector_typeIfLj2EEiiiiS1_IjLj3EES5_S5_S5_ ; -- Begin function _ZL33flash_attn_stream_k_fixup_generalILi128ELi1ELi1EEvPfPK15HIP_vector_typeIfLj2EEiiiiS1_IjLj3EES5_S5_S5_
	.p2align	8
	.type	_ZL33flash_attn_stream_k_fixup_generalILi128ELi1ELi1EEvPfPK15HIP_vector_typeIfLj2EEiiiiS1_IjLj3EES5_S5_S5_,@function
_ZL33flash_attn_stream_k_fixup_generalILi128ELi1ELi1EEvPfPK15HIP_vector_typeIfLj2EEiiiiS1_IjLj3EES5_S5_S5_: ; @_ZL33flash_attn_stream_k_fixup_generalILi128ELi1ELi1EEvPfPK15HIP_vector_typeIfLj2EEiiiiS1_IjLj3EES5_S5_S5_
; %bb.0:
	s_clause 0x1
	s_load_dwordx4 s[0:3], s[4:5], 0x10
	s_load_dword s9, s[4:5], 0x50
	s_mov_b32 s16, 0
	s_waitcnt lgkmcnt(0)
	s_mul_hi_i32 s17, s3, s6
	s_mul_i32 s18, s3, s6
	s_cmp_lg_u64 s[16:17], 0
	s_cbranch_scc0 .LBB16_21
; %bb.1:
	s_add_u32 s10, s9, 0
	s_addc_u32 s11, 0, 0
	s_xor_b64 s[10:11], s[10:11], 0
	v_cvt_f32_u32_e32 v1, s10
	v_cvt_f32_u32_e32 v2, s11
	s_sub_u32 s14, 0, s10
	s_subb_u32 s15, 0, s11
	v_fmamk_f32 v1, v2, 0x4f800000, v1
	v_rcp_f32_e32 v1, v1
	v_mul_f32_e32 v1, 0x5f7ffffc, v1
	v_mul_f32_e32 v2, 0x2f800000, v1
	v_trunc_f32_e32 v2, v2
	v_fmamk_f32 v1, v2, 0xcf800000, v1
	v_cvt_u32_f32_e32 v2, v2
	v_cvt_u32_f32_e32 v1, v1
	v_readfirstlane_b32 s12, v2
	v_readfirstlane_b32 s13, v1
	s_mul_i32 s19, s14, s12
	s_mul_hi_u32 s21, s14, s13
	s_mul_i32 s20, s15, s13
	s_add_i32 s19, s21, s19
	s_mul_i32 s22, s14, s13
	s_add_i32 s19, s19, s20
	s_mul_hi_u32 s21, s13, s22
	s_mul_i32 s24, s13, s19
	s_mul_hi_u32 s23, s12, s22
	s_mul_i32 s20, s12, s22
	s_mul_hi_u32 s22, s13, s19
	s_add_u32 s21, s21, s24
	s_addc_u32 s22, 0, s22
	s_mul_hi_u32 s25, s12, s19
	s_add_u32 s20, s21, s20
	s_mul_i32 s19, s12, s19
	s_addc_u32 s20, s22, s23
	s_addc_u32 s21, s25, 0
	s_add_u32 s19, s20, s19
	s_addc_u32 s20, 0, s21
	s_add_u32 s13, s13, s19
	s_cselect_b32 s19, -1, 0
	s_mul_hi_u32 s21, s14, s13
	s_cmp_lg_u32 s19, 0
	s_mul_i32 s19, s14, s13
	s_addc_u32 s12, s12, s20
	s_mul_i32 s15, s15, s13
	s_mul_i32 s14, s14, s12
	s_mul_hi_u32 s20, s13, s19
	s_add_i32 s14, s21, s14
	s_mul_hi_u32 s21, s12, s19
	s_add_i32 s14, s14, s15
	s_mul_i32 s15, s12, s19
	s_mul_i32 s23, s13, s14
	s_mul_hi_u32 s22, s13, s14
	s_add_u32 s20, s20, s23
	s_addc_u32 s22, 0, s22
	s_mul_hi_u32 s19, s12, s14
	s_add_u32 s15, s20, s15
	s_mul_i32 s14, s12, s14
	s_addc_u32 s15, s22, s21
	s_addc_u32 s19, s19, 0
	s_add_u32 s14, s15, s14
	s_addc_u32 s15, 0, s19
	s_add_u32 s19, s13, s14
	s_cselect_b32 s13, -1, 0
	s_cmp_lg_u32 s13, 0
	s_addc_u32 s20, s12, s15
	s_ashr_i32 s12, s17, 31
	s_add_u32 s14, s18, s12
	s_mov_b32 s13, s12
	s_addc_u32 s15, s17, s12
	s_xor_b64 s[14:15], s[14:15], s[12:13]
	s_mul_i32 s21, s14, s20
	s_mul_hi_u32 s22, s14, s19
	s_mul_hi_u32 s17, s14, s20
	;; [unrolled: 1-line block ×3, first 2 shown]
	s_mul_i32 s19, s15, s19
	s_add_u32 s21, s22, s21
	s_addc_u32 s17, 0, s17
	s_mul_hi_u32 s23, s15, s20
	s_add_u32 s19, s21, s19
	s_mul_i32 s20, s15, s20
	s_addc_u32 s17, s17, s24
	s_addc_u32 s19, s23, 0
	s_add_u32 s17, s17, s20
	s_addc_u32 s19, 0, s19
	s_mul_hi_u32 s20, s10, s17
	s_mul_i32 s21, s10, s19
	s_mul_i32 s22, s11, s17
	s_add_i32 s20, s20, s21
	s_mul_i32 s21, s10, s17
	s_add_i32 s20, s20, s22
	s_sub_i32 s22, s15, s20
	s_sub_u32 s14, s14, s21
	s_cselect_b32 s21, -1, 0
	s_cmp_lg_u32 s21, 0
	s_subb_u32 s22, s22, s11
	s_sub_u32 s23, s14, s10
	s_cselect_b32 s24, -1, 0
	s_cmp_lg_u32 s24, 0
	s_subb_u32 s22, s22, 0
	s_cmp_ge_u32 s22, s11
	s_cselect_b32 s24, -1, 0
	s_cmp_ge_u32 s23, s10
	s_cselect_b32 s23, -1, 0
	s_cmp_eq_u32 s22, s11
	s_cselect_b32 s22, s23, s24
	s_add_u32 s23, s17, 1
	s_addc_u32 s24, s19, 0
	s_add_u32 s25, s17, 2
	s_addc_u32 s26, s19, 0
	s_cmp_lg_u32 s22, 0
	s_cselect_b32 s22, s25, s23
	s_cselect_b32 s23, s26, s24
	s_cmp_lg_u32 s21, 0
	s_subb_u32 s15, s15, s20
	s_cmp_ge_u32 s15, s11
	s_cselect_b32 s20, -1, 0
	s_cmp_ge_u32 s14, s10
	s_cselect_b32 s10, -1, 0
	s_cmp_eq_u32 s15, s11
	s_cselect_b32 s10, s10, s20
	s_cmp_lg_u32 s10, 0
	s_cselect_b32 s11, s23, s19
	s_cselect_b32 s10, s22, s17
	s_xor_b64 s[12:13], s[12:13], 0
	s_xor_b64 s[10:11], s[10:11], s[12:13]
	s_sub_u32 s10, s10, s12
	s_load_dwordx4 s[12:15], s[4:5], 0x44
	s_andn2_b32 vcc_lo, exec_lo, s16
	s_cbranch_vccnz .LBB16_3
.LBB16_2:
	v_cvt_f32_u32_e32 v1, s9
	s_sub_i32 s11, 0, s9
	v_rcp_iflag_f32_e32 v1, v1
	v_mul_f32_e32 v1, 0x4f7ffffe, v1
	v_cvt_u32_f32_e32 v1, v1
	v_readfirstlane_b32 s10, v1
	s_mul_i32 s11, s11, s10
	s_mul_hi_u32 s11, s10, s11
	s_add_i32 s10, s10, s11
	s_mul_hi_u32 s10, s18, s10
	s_mul_i32 s11, s10, s9
	s_waitcnt lgkmcnt(0)
	s_add_i32 s15, s10, 1
	s_sub_i32 s11, s18, s11
	s_sub_i32 s16, s11, s9
	s_cmp_ge_u32 s11, s9
	s_cselect_b32 s10, s15, s10
	s_cselect_b32 s11, s16, s11
	s_add_i32 s15, s10, 1
	s_cmp_ge_u32 s11, s9
	s_cselect_b32 s10, s15, s10
.LBB16_3:
	s_add_i32 s11, s6, 1
	s_mov_b32 s16, 0
	s_mul_hi_i32 s17, s3, s11
	s_mul_i32 s11, s3, s11
	s_cmp_lg_u64 s[16:17], 0
	s_cbranch_scc0 .LBB16_22
; %bb.4:
	s_add_u32 s18, s9, 0
	s_addc_u32 s19, 0, 0
	s_xor_b64 s[18:19], s[18:19], 0
	v_cvt_f32_u32_e32 v1, s18
	v_cvt_f32_u32_e32 v2, s19
	s_sub_u32 s21, 0, s18
	s_subb_u32 s22, 0, s19
	v_fmamk_f32 v1, v2, 0x4f800000, v1
	v_rcp_f32_e32 v1, v1
	v_mul_f32_e32 v1, 0x5f7ffffc, v1
	v_mul_f32_e32 v2, 0x2f800000, v1
	v_trunc_f32_e32 v2, v2
	v_fmamk_f32 v1, v2, 0xcf800000, v1
	v_cvt_u32_f32_e32 v2, v2
	v_cvt_u32_f32_e32 v1, v1
	s_waitcnt lgkmcnt(0)
	v_readfirstlane_b32 s15, v2
	v_readfirstlane_b32 s20, v1
	s_mul_i32 s23, s21, s15
	s_mul_hi_u32 s25, s21, s20
	s_mul_i32 s24, s22, s20
	s_add_i32 s23, s25, s23
	s_mul_i32 s26, s21, s20
	s_add_i32 s23, s23, s24
	s_mul_hi_u32 s25, s20, s26
	s_mul_i32 s28, s20, s23
	s_mul_hi_u32 s27, s15, s26
	s_mul_i32 s24, s15, s26
	s_mul_hi_u32 s26, s20, s23
	s_add_u32 s25, s25, s28
	s_addc_u32 s26, 0, s26
	s_mul_hi_u32 s29, s15, s23
	s_add_u32 s24, s25, s24
	s_mul_i32 s23, s15, s23
	s_addc_u32 s24, s26, s27
	s_addc_u32 s25, s29, 0
	s_add_u32 s23, s24, s23
	s_addc_u32 s24, 0, s25
	s_add_u32 s20, s20, s23
	s_cselect_b32 s23, -1, 0
	s_mul_hi_u32 s25, s21, s20
	s_cmp_lg_u32 s23, 0
	s_mul_i32 s23, s21, s20
	s_addc_u32 s15, s15, s24
	s_mul_i32 s22, s22, s20
	s_mul_i32 s21, s21, s15
	s_mul_hi_u32 s24, s20, s23
	s_add_i32 s21, s25, s21
	s_mul_hi_u32 s25, s15, s23
	s_add_i32 s21, s21, s22
	s_mul_i32 s22, s15, s23
	s_mul_i32 s27, s20, s21
	s_mul_hi_u32 s26, s20, s21
	s_add_u32 s24, s24, s27
	s_addc_u32 s26, 0, s26
	s_mul_hi_u32 s23, s15, s21
	s_add_u32 s22, s24, s22
	s_mul_i32 s21, s15, s21
	s_addc_u32 s22, s26, s25
	s_addc_u32 s23, s23, 0
	s_add_u32 s21, s22, s21
	s_addc_u32 s22, 0, s23
	s_add_u32 s24, s20, s21
	s_cselect_b32 s20, -1, 0
	s_cmp_lg_u32 s20, 0
	s_addc_u32 s15, s15, s22
	s_ashr_i32 s20, s17, 31
	s_add_u32 s22, s11, s20
	s_mov_b32 s21, s20
	s_addc_u32 s23, s17, s20
	s_xor_b64 s[22:23], s[22:23], s[20:21]
	s_mul_i32 s25, s22, s15
	s_mul_hi_u32 s26, s22, s24
	s_mul_hi_u32 s17, s22, s15
	;; [unrolled: 1-line block ×3, first 2 shown]
	s_mul_i32 s24, s23, s24
	s_add_u32 s25, s26, s25
	s_addc_u32 s17, 0, s17
	s_mul_hi_u32 s27, s23, s15
	s_add_u32 s24, s25, s24
	s_mul_i32 s15, s23, s15
	s_addc_u32 s17, s17, s28
	s_addc_u32 s24, s27, 0
	s_add_u32 s15, s17, s15
	s_addc_u32 s17, 0, s24
	s_mul_hi_u32 s24, s18, s15
	s_mul_i32 s25, s18, s17
	s_mul_i32 s26, s19, s15
	s_add_i32 s24, s24, s25
	s_mul_i32 s25, s18, s15
	s_add_i32 s24, s24, s26
	s_sub_i32 s26, s23, s24
	s_sub_u32 s22, s22, s25
	s_cselect_b32 s25, -1, 0
	s_cmp_lg_u32 s25, 0
	s_subb_u32 s26, s26, s19
	s_sub_u32 s27, s22, s18
	s_cselect_b32 s28, -1, 0
	s_cmp_lg_u32 s28, 0
	s_subb_u32 s26, s26, 0
	s_cmp_ge_u32 s26, s19
	s_cselect_b32 s28, -1, 0
	s_cmp_ge_u32 s27, s18
	s_cselect_b32 s27, -1, 0
	s_cmp_eq_u32 s26, s19
	s_cselect_b32 s26, s27, s28
	s_add_u32 s27, s15, 1
	s_addc_u32 s28, s17, 0
	s_add_u32 s29, s15, 2
	s_addc_u32 s30, s17, 0
	s_cmp_lg_u32 s26, 0
	s_cselect_b32 s26, s29, s27
	s_cselect_b32 s27, s30, s28
	s_cmp_lg_u32 s25, 0
	s_subb_u32 s23, s23, s24
	s_cmp_ge_u32 s23, s19
	s_cselect_b32 s24, -1, 0
	s_cmp_ge_u32 s22, s18
	s_cselect_b32 s18, -1, 0
	s_cmp_eq_u32 s23, s19
	s_cselect_b32 s18, s18, s24
	s_cmp_lg_u32 s18, 0
	s_cselect_b32 s19, s27, s17
	s_cselect_b32 s18, s26, s15
	s_xor_b64 s[20:21], s[20:21], 0
	s_xor_b64 s[18:19], s[18:19], s[20:21]
	s_sub_u32 s18, s18, s20
	s_andn2_b32 vcc_lo, exec_lo, s16
	s_cbranch_vccnz .LBB16_6
.LBB16_5:
	v_cvt_f32_u32_e32 v1, s9
	s_sub_i32 s16, 0, s9
	v_rcp_iflag_f32_e32 v1, v1
	v_mul_f32_e32 v1, 0x4f7ffffe, v1
	v_cvt_u32_f32_e32 v1, v1
	s_waitcnt lgkmcnt(0)
	v_readfirstlane_b32 s15, v1
	s_mul_i32 s16, s16, s15
	s_mul_hi_u32 s16, s15, s16
	s_add_i32 s15, s15, s16
	s_mul_hi_u32 s15, s11, s15
	s_mul_i32 s16, s15, s9
	s_sub_i32 s11, s11, s16
	s_add_i32 s16, s15, 1
	s_sub_i32 s17, s11, s9
	s_cmp_ge_u32 s11, s9
	s_cselect_b32 s15, s16, s15
	s_cselect_b32 s11, s17, s11
	s_add_i32 s16, s15, 1
	s_cmp_ge_u32 s11, s9
	s_cselect_b32 s18, s16, s15
.LBB16_6:
	s_cmp_eq_u32 s10, s18
	s_waitcnt lgkmcnt(0)
	s_mul_hi_u32 s11, s10, s12
	s_cselect_b32 s15, -1, 0
	s_add_i32 s11, s11, s10
	s_lshr_b32 s11, s11, s13
	s_mul_i32 s16, s11, s14
	s_cmp_eq_u32 s16, s10
	s_mul_hi_u32 s16, s18, s12
	s_cselect_b32 s17, -1, 0
	s_add_i32 s16, s16, s18
	s_lshr_b32 s16, s16, s13
	s_cmp_eq_u32 s11, s16
	s_mul_i32 s16, s16, s14
	s_cselect_b32 s19, -1, 0
	s_cmp_lg_u32 s16, s18
	s_cselect_b32 s16, -1, 0
	s_or_b32 s15, s15, s17
	s_and_b32 s16, s19, s16
	s_or_b32 s15, s15, s16
	s_and_b32 vcc_lo, exec_lo, s15
	s_cbranch_vccnz .LBB16_24
; %bb.7:
	s_load_dwordx8 s[16:23], s[4:5], 0x20
	s_waitcnt lgkmcnt(0)
	s_mul_hi_u32 s15, s10, s16
	s_load_dword s16, s[4:5], 0x40
	s_add_i32 s15, s15, s10
	s_lshr_b32 s15, s15, s17
	s_mul_i32 s17, s15, s18
	s_sub_i32 s17, s10, s17
	s_mul_hi_u32 s18, s17, s19
	s_add_i32 s18, s17, s18
	s_lshr_b32 s20, s18, s20
	s_mul_i32 s18, s20, s21
	s_sub_i32 s17, s17, s18
	s_mul_hi_u32 s18, s17, s22
	s_add_i32 s18, s17, s18
	s_lshr_b32 s22, s18, s23
	s_waitcnt lgkmcnt(0)
	s_mul_i32 s16, s22, s16
	s_sub_i32 s16, s17, s16
	s_mul_hi_u32 s17, s16, s12
	s_add_i32 s16, s16, s17
	s_lshr_b32 s21, s16, s13
	s_add_i32 s21, s21, s7
	s_cmp_lt_i32 s21, s0
	s_cselect_b32 s16, -1, 0
	s_add_i32 s22, s22, s8
	s_cmp_lt_i32 s22, s2
	s_cselect_b32 s17, -1, 0
	s_and_b32 s16, s16, s17
	s_andn2_b32 vcc_lo, exec_lo, s16
	s_cbranch_vccnz .LBB16_24
; %bb.8:
	s_load_dwordx4 s[16:19], s[4:5], 0x0
	s_mov_b32 s4, 0
	s_lshl_b32 s24, s9, 2
	s_mov_b32 s25, s4
	s_add_i32 s8, s7, s8
	s_lshl_b64 s[24:25], s[24:25], 2
	s_mul_i32 s0, s15, s0
	s_mul_i32 s20, s20, s2
	v_cvt_f32_u32_e32 v3, s9
	v_rcp_iflag_f32_e32 v3, v3
	s_waitcnt lgkmcnt(0)
	s_add_u32 s2, s18, s24
	s_addc_u32 s15, s19, s25
	s_add_i32 s0, s21, s0
	s_add_i32 s5, s22, s20
	s_mul_i32 s0, s0, s1
	v_mul_f32_e32 v3, 0x4f7ffffe, v3
	s_add_i32 s5, s5, s0
	s_add_i32 s0, s8, s6
	v_lshl_or_b32 v1, s5, 7, v0
	s_ashr_i32 s1, s0, 31
	v_cvt_u32_f32_e32 v3, v3
	s_lshl_b64 s[0:1], s[0:1], 3
	v_ashrrev_i32_e32 v2, 31, v1
	s_add_u32 s0, s18, s0
	s_addc_u32 s1, s19, s1
	s_load_dwordx2 s[0:1], s[0:1], 0x0
	v_lshlrev_b64 v[1:2], 2, v[1:2]
	v_add_co_u32 v1, vcc_lo, s16, v1
	v_add_co_ci_u32_e64 v2, null, s17, v2, vcc_lo
	s_add_i32 s17, s6, -1
	s_sub_i32 s16, 0, s9
	global_load_dword v4, v[1:2], off
	s_waitcnt lgkmcnt(0)
	v_mov_b32_e32 v5, s1
	v_mov_b32_e32 v6, s0
.LBB16_9:                               ; =>This Inner Loop Header: Depth=1
	s_mul_hi_i32 s5, s17, s3
	s_mul_i32 s6, s17, s3
	s_cmp_lg_u64 s[4:5], 0
	s_mov_b32 s7, -1
                                        ; implicit-def: $sgpr0_sgpr1
	s_cbranch_scc0 .LBB16_11
; %bb.10:                               ;   in Loop: Header=BB16_9 Depth=1
	s_add_u32 s0, s9, 0
	s_addc_u32 s1, 0, 0
	s_xor_b64 s[0:1], s[0:1], 0
	v_cvt_f32_u32_e32 v7, s0
	v_cvt_f32_u32_e32 v8, s1
	s_sub_u32 s21, 0, s0
	s_subb_u32 s22, 0, s1
	v_fmac_f32_e32 v7, 0x4f800000, v8
	v_rcp_f32_e32 v7, v7
	v_mul_f32_e32 v7, 0x5f7ffffc, v7
	v_mul_f32_e32 v8, 0x2f800000, v7
	v_trunc_f32_e32 v8, v8
	v_fmac_f32_e32 v7, 0xcf800000, v8
	v_cvt_u32_f32_e32 v8, v8
	v_cvt_u32_f32_e32 v7, v7
	v_readfirstlane_b32 s7, v8
	v_readfirstlane_b32 s20, v7
	s_mul_i32 s23, s21, s7
	s_mul_hi_u32 s25, s21, s20
	s_mul_i32 s24, s22, s20
	s_add_i32 s23, s25, s23
	s_mul_i32 s26, s21, s20
	s_add_i32 s23, s23, s24
	s_mul_hi_u32 s25, s20, s26
	s_mul_i32 s28, s20, s23
	s_mul_hi_u32 s27, s7, s26
	s_mul_i32 s24, s7, s26
	s_mul_hi_u32 s26, s20, s23
	s_add_u32 s25, s25, s28
	s_addc_u32 s26, 0, s26
	s_mul_hi_u32 s29, s7, s23
	s_add_u32 s24, s25, s24
	s_mul_i32 s23, s7, s23
	s_addc_u32 s24, s26, s27
	s_addc_u32 s25, s29, 0
	s_add_u32 s23, s24, s23
	s_addc_u32 s24, 0, s25
	s_add_u32 s20, s20, s23
	s_cselect_b32 s23, -1, 0
	s_mul_hi_u32 s25, s21, s20
	s_cmp_lg_u32 s23, 0
	s_mul_i32 s23, s21, s20
	s_addc_u32 s7, s7, s24
	s_mul_i32 s22, s22, s20
	s_mul_i32 s21, s21, s7
	s_mul_hi_u32 s24, s20, s23
	s_add_i32 s21, s25, s21
	s_mul_hi_u32 s25, s7, s23
	s_add_i32 s21, s21, s22
	s_mul_i32 s22, s7, s23
	s_mul_i32 s27, s20, s21
	s_mul_hi_u32 s26, s20, s21
	s_add_u32 s24, s24, s27
	s_addc_u32 s26, 0, s26
	s_mul_hi_u32 s23, s7, s21
	s_add_u32 s22, s24, s22
	s_mul_i32 s21, s7, s21
	s_addc_u32 s22, s26, s25
	s_addc_u32 s23, s23, 0
	s_add_u32 s21, s22, s21
	s_addc_u32 s22, 0, s23
	s_add_u32 s24, s20, s21
	s_cselect_b32 s20, -1, 0
	s_cmp_lg_u32 s20, 0
	s_addc_u32 s7, s7, s22
	s_ashr_i32 s20, s5, 31
	s_add_u32 s22, s6, s20
	s_mov_b32 s21, s20
	s_addc_u32 s23, s5, s20
	s_xor_b64 s[22:23], s[22:23], s[20:21]
	s_mul_i32 s25, s22, s7
	s_mul_hi_u32 s26, s22, s24
	s_mul_hi_u32 s5, s22, s7
	;; [unrolled: 1-line block ×3, first 2 shown]
	s_mul_i32 s24, s23, s24
	s_add_u32 s25, s26, s25
	s_addc_u32 s5, 0, s5
	s_mul_hi_u32 s27, s23, s7
	s_add_u32 s24, s25, s24
	s_mul_i32 s7, s23, s7
	s_addc_u32 s5, s5, s28
	s_addc_u32 s24, s27, 0
	s_add_u32 s5, s5, s7
	s_addc_u32 s7, 0, s24
	s_mul_hi_u32 s24, s0, s5
	s_mul_i32 s25, s0, s7
	s_mul_i32 s26, s1, s5
	s_add_i32 s24, s24, s25
	s_mul_i32 s25, s0, s5
	s_add_i32 s24, s24, s26
	s_sub_i32 s26, s23, s24
	s_sub_u32 s22, s22, s25
	s_cselect_b32 s25, -1, 0
	s_cmp_lg_u32 s25, 0
	s_subb_u32 s26, s26, s1
	s_sub_u32 s27, s22, s0
	s_cselect_b32 s28, -1, 0
	s_cmp_lg_u32 s28, 0
	s_subb_u32 s26, s26, 0
	s_cmp_ge_u32 s26, s1
	s_cselect_b32 s28, -1, 0
	s_cmp_ge_u32 s27, s0
	s_cselect_b32 s27, -1, 0
	s_cmp_eq_u32 s26, s1
	s_cselect_b32 s26, s27, s28
	s_add_u32 s27, s5, 1
	s_addc_u32 s28, s7, 0
	s_add_u32 s29, s5, 2
	s_addc_u32 s30, s7, 0
	s_cmp_lg_u32 s26, 0
	s_cselect_b32 s26, s29, s27
	s_cselect_b32 s27, s30, s28
	s_cmp_lg_u32 s25, 0
	s_subb_u32 s23, s23, s24
	s_cmp_ge_u32 s23, s1
	s_cselect_b32 s24, -1, 0
	s_cmp_ge_u32 s22, s0
	s_cselect_b32 s0, -1, 0
	s_cmp_eq_u32 s23, s1
	s_cselect_b32 s0, s0, s24
	s_cmp_lg_u32 s0, 0
	s_cselect_b32 s1, s27, s7
	s_cselect_b32 s0, s26, s5
	s_xor_b64 s[20:21], s[20:21], 0
	s_mov_b32 s7, 0
	s_xor_b64 s[0:1], s[0:1], s[20:21]
	s_sub_u32 s0, s0, s20
.LBB16_11:                              ;   in Loop: Header=BB16_9 Depth=1
	s_andn2_b32 vcc_lo, exec_lo, s7
	s_cbranch_vccnz .LBB16_13
; %bb.12:                               ;   in Loop: Header=BB16_9 Depth=1
	v_readfirstlane_b32 s0, v3
	s_mul_i32 s1, s16, s0
	s_mul_hi_u32 s1, s0, s1
	s_add_i32 s0, s0, s1
	s_mul_hi_u32 s0, s6, s0
	s_mul_i32 s1, s0, s9
	s_add_i32 s5, s0, 1
	s_sub_i32 s1, s6, s1
	s_sub_i32 s6, s1, s9
	s_cmp_ge_u32 s1, s9
	s_cselect_b32 s0, s5, s0
	s_cselect_b32 s1, s6, s1
	s_add_i32 s5, s0, 1
	s_cmp_ge_u32 s1, s9
	s_cselect_b32 s0, s5, s0
.LBB16_13:                              ;   in Loop: Header=BB16_9 Depth=1
	s_cmp_lg_u32 s10, s0
	s_mov_b32 s6, -1
                                        ; implicit-def: $sgpr5
                                        ; implicit-def: $vgpr8
                                        ; implicit-def: $vgpr7
                                        ; implicit-def: $vgpr9
                                        ; implicit-def: $sgpr1
                                        ; implicit-def: $sgpr20
	s_cbranch_scc0 .LBB16_18
; %bb.14:                               ;   in Loop: Header=BB16_9 Depth=1
	s_add_i32 s21, s17, s8
	s_mov_b32 s7, s4
	s_add_i32 s6, s21, s9
	s_mul_hi_u32 s1, s0, s12
	s_lshl_b64 s[6:7], s[6:7], 3
	s_mov_b32 s20, s10
	s_add_u32 s6, s18, s6
	s_addc_u32 s7, s19, s7
	s_add_i32 s1, s1, s0
	s_lshr_b32 s1, s1, s13
	s_mul_i32 s5, s1, s14
	s_cmp_eq_u32 s5, s0
	s_cselect_b32 s5, -1, 0
	s_cmp_lt_u32 s1, s11
	s_cselect_b32 s1, -1, 0
	s_or_b32 s1, s1, s5
	s_mov_b32 s5, -1
	s_and_b32 vcc_lo, exec_lo, s1
	s_mov_b32 s1, s17
	s_cbranch_vccnz .LBB16_16
; %bb.15:                               ;   in Loop: Header=BB16_9 Depth=1
	s_add_i32 s1, s17, -1
	s_mov_b32 s5, 0
	s_mov_b32 s20, s0
.LBB16_16:                              ;   in Loop: Header=BB16_9 Depth=1
	v_lshl_or_b32 v7, s21, 7, v0
	s_load_dwordx2 s[6:7], s[6:7], 0x0
	v_ashrrev_i32_e32 v8, 31, v7
	v_lshlrev_b64 v[7:8], 2, v[7:8]
	v_add_co_u32 v7, vcc_lo, s2, v7
	v_add_co_ci_u32_e64 v8, null, s15, v8, vcc_lo
	s_waitcnt lgkmcnt(0)
	v_max_f32_e64 v9, s6, s6
	global_load_dword v8, v[7:8], off
	v_max_f32_e32 v7, v6, v6
	v_max_f32_e32 v7, v7, v9
	v_sub_f32_e32 v9, s6, v7
	v_sub_f32_e32 v10, v6, v7
	v_mul_f32_e32 v11, 0x3fb8aa3b, v9
	v_mul_f32_e32 v12, 0x3fb8aa3b, v10
	v_cmp_ngt_f32_e32 vcc_lo, 0xc2ce8ed0, v9
	v_fma_f32 v13, 0x3fb8aa3b, v9, -v11
	v_rndne_f32_e32 v14, v11
	v_fma_f32 v15, 0x3fb8aa3b, v10, -v12
	v_rndne_f32_e32 v16, v12
	v_fmac_f32_e32 v13, 0x32a5705f, v9
	v_sub_f32_e32 v11, v11, v14
	v_fmac_f32_e32 v15, 0x32a5705f, v10
	v_sub_f32_e32 v12, v12, v16
	v_add_f32_e32 v11, v11, v13
	v_cvt_i32_f32_e32 v13, v14
	v_add_f32_e32 v12, v12, v15
	v_cvt_i32_f32_e32 v14, v16
	v_exp_f32_e32 v11, v11
	v_exp_f32_e32 v12, v12
	v_ldexp_f32 v11, v11, v13
	v_ldexp_f32 v12, v12, v14
	v_cndmask_b32_e32 v11, 0, v11, vcc_lo
	v_cmp_ngt_f32_e32 vcc_lo, 0xc2ce8ed0, v10
	v_cndmask_b32_e32 v12, 0, v12, vcc_lo
	v_cmp_nlt_f32_e32 vcc_lo, 0x42b17218, v9
	v_cndmask_b32_e32 v11, 0x7f800000, v11, vcc_lo
	v_cmp_nlt_f32_e32 vcc_lo, 0x42b17218, v10
	v_cndmask_b32_e32 v12, 0x7f800000, v12, vcc_lo
	v_cmp_le_f32_e32 vcc_lo, 0xc1a00000, v9
	v_cndmask_b32_e32 v9, 0, v11, vcc_lo
	v_cmp_le_f32_e32 vcc_lo, 0xc1a00000, v10
	v_cndmask_b32_e32 v10, 0, v12, vcc_lo
	s_waitcnt vmcnt(0)
	v_mul_f32_e32 v8, v8, v9
	v_mul_f32_e32 v9, s7, v9
	v_fmac_f32_e32 v8, v4, v10
	v_fmac_f32_e32 v9, v5, v10
	s_cbranch_execz .LBB16_19
.LBB16_17:                              ;   in Loop: Header=BB16_9 Depth=1
	s_andn2_b32 vcc_lo, exec_lo, s5
	s_cbranch_vccnz .LBB16_20
	s_branch .LBB16_23
.LBB16_18:                              ;   in Loop: Header=BB16_9 Depth=1
	s_andn2_b32 vcc_lo, exec_lo, s6
	s_cbranch_vccnz .LBB16_17
.LBB16_19:                              ;   in Loop: Header=BB16_9 Depth=1
	v_mov_b32_e32 v9, v5
	v_mov_b32_e32 v7, v6
	s_waitcnt vmcnt(0)
	v_mov_b32_e32 v8, v4
	s_add_i32 s1, s17, -1
	s_mov_b32 s20, s10
	s_cbranch_execz .LBB16_23
.LBB16_20:                              ;   in Loop: Header=BB16_9 Depth=1
	v_mov_b32_e32 v5, v9
	v_mov_b32_e32 v6, v7
	s_waitcnt vmcnt(0)
	v_mov_b32_e32 v4, v8
	s_mov_b32 s10, s20
	s_mov_b32 s17, s1
	s_branch .LBB16_9
.LBB16_21:
                                        ; implicit-def: $sgpr10_sgpr11
	s_load_dwordx4 s[12:15], s[4:5], 0x44
	s_branch .LBB16_2
.LBB16_22:
                                        ; implicit-def: $sgpr18_sgpr19
	s_branch .LBB16_5
.LBB16_23:
	v_div_scale_f32 v0, null, v9, v9, v8
	v_rcp_f32_e32 v3, v0
	s_waitcnt vmcnt(0)
	v_fma_f32 v4, -v0, v3, 1.0
	v_fmac_f32_e32 v3, v4, v3
	v_div_scale_f32 v4, vcc_lo, v8, v9, v8
	v_mul_f32_e32 v5, v4, v3
	v_fma_f32 v6, -v0, v5, v4
	v_fmac_f32_e32 v5, v6, v3
	v_fma_f32 v0, -v0, v5, v4
	v_div_fmas_f32 v0, v0, v3, v5
	v_div_fixup_f32 v0, v0, v9, v8
	global_store_dword v[1:2], v0, off
.LBB16_24:
	s_endpgm
	.section	.rodata,"a",@progbits
	.p2align	6, 0x0
	.amdhsa_kernel _ZL33flash_attn_stream_k_fixup_generalILi128ELi1ELi1EEvPfPK15HIP_vector_typeIfLj2EEiiiiS1_IjLj3EES5_S5_S5_
		.amdhsa_group_segment_fixed_size 0
		.amdhsa_private_segment_fixed_size 0
		.amdhsa_kernarg_size 336
		.amdhsa_user_sgpr_count 6
		.amdhsa_user_sgpr_private_segment_buffer 1
		.amdhsa_user_sgpr_dispatch_ptr 0
		.amdhsa_user_sgpr_queue_ptr 0
		.amdhsa_user_sgpr_kernarg_segment_ptr 1
		.amdhsa_user_sgpr_dispatch_id 0
		.amdhsa_user_sgpr_flat_scratch_init 0
		.amdhsa_user_sgpr_private_segment_size 0
		.amdhsa_wavefront_size32 1
		.amdhsa_uses_dynamic_stack 0
		.amdhsa_system_sgpr_private_segment_wavefront_offset 0
		.amdhsa_system_sgpr_workgroup_id_x 1
		.amdhsa_system_sgpr_workgroup_id_y 1
		.amdhsa_system_sgpr_workgroup_id_z 1
		.amdhsa_system_sgpr_workgroup_info 0
		.amdhsa_system_vgpr_workitem_id 0
		.amdhsa_next_free_vgpr 17
		.amdhsa_next_free_sgpr 31
		.amdhsa_reserve_vcc 1
		.amdhsa_reserve_flat_scratch 0
		.amdhsa_float_round_mode_32 0
		.amdhsa_float_round_mode_16_64 0
		.amdhsa_float_denorm_mode_32 3
		.amdhsa_float_denorm_mode_16_64 3
		.amdhsa_dx10_clamp 1
		.amdhsa_ieee_mode 1
		.amdhsa_fp16_overflow 0
		.amdhsa_workgroup_processor_mode 1
		.amdhsa_memory_ordered 1
		.amdhsa_forward_progress 1
		.amdhsa_shared_vgpr_count 0
		.amdhsa_exception_fp_ieee_invalid_op 0
		.amdhsa_exception_fp_denorm_src 0
		.amdhsa_exception_fp_ieee_div_zero 0
		.amdhsa_exception_fp_ieee_overflow 0
		.amdhsa_exception_fp_ieee_underflow 0
		.amdhsa_exception_fp_ieee_inexact 0
		.amdhsa_exception_int_div_zero 0
	.end_amdhsa_kernel
	.section	.text._ZL33flash_attn_stream_k_fixup_generalILi128ELi1ELi1EEvPfPK15HIP_vector_typeIfLj2EEiiiiS1_IjLj3EES5_S5_S5_,"axG",@progbits,_ZL33flash_attn_stream_k_fixup_generalILi128ELi1ELi1EEvPfPK15HIP_vector_typeIfLj2EEiiiiS1_IjLj3EES5_S5_S5_,comdat
.Lfunc_end16:
	.size	_ZL33flash_attn_stream_k_fixup_generalILi128ELi1ELi1EEvPfPK15HIP_vector_typeIfLj2EEiiiiS1_IjLj3EES5_S5_S5_, .Lfunc_end16-_ZL33flash_attn_stream_k_fixup_generalILi128ELi1ELi1EEvPfPK15HIP_vector_typeIfLj2EEiiiiS1_IjLj3EES5_S5_S5_
                                        ; -- End function
	.set _ZL33flash_attn_stream_k_fixup_generalILi128ELi1ELi1EEvPfPK15HIP_vector_typeIfLj2EEiiiiS1_IjLj3EES5_S5_S5_.num_vgpr, 17
	.set _ZL33flash_attn_stream_k_fixup_generalILi128ELi1ELi1EEvPfPK15HIP_vector_typeIfLj2EEiiiiS1_IjLj3EES5_S5_S5_.num_agpr, 0
	.set _ZL33flash_attn_stream_k_fixup_generalILi128ELi1ELi1EEvPfPK15HIP_vector_typeIfLj2EEiiiiS1_IjLj3EES5_S5_S5_.numbered_sgpr, 31
	.set _ZL33flash_attn_stream_k_fixup_generalILi128ELi1ELi1EEvPfPK15HIP_vector_typeIfLj2EEiiiiS1_IjLj3EES5_S5_S5_.num_named_barrier, 0
	.set _ZL33flash_attn_stream_k_fixup_generalILi128ELi1ELi1EEvPfPK15HIP_vector_typeIfLj2EEiiiiS1_IjLj3EES5_S5_S5_.private_seg_size, 0
	.set _ZL33flash_attn_stream_k_fixup_generalILi128ELi1ELi1EEvPfPK15HIP_vector_typeIfLj2EEiiiiS1_IjLj3EES5_S5_S5_.uses_vcc, 1
	.set _ZL33flash_attn_stream_k_fixup_generalILi128ELi1ELi1EEvPfPK15HIP_vector_typeIfLj2EEiiiiS1_IjLj3EES5_S5_S5_.uses_flat_scratch, 0
	.set _ZL33flash_attn_stream_k_fixup_generalILi128ELi1ELi1EEvPfPK15HIP_vector_typeIfLj2EEiiiiS1_IjLj3EES5_S5_S5_.has_dyn_sized_stack, 0
	.set _ZL33flash_attn_stream_k_fixup_generalILi128ELi1ELi1EEvPfPK15HIP_vector_typeIfLj2EEiiiiS1_IjLj3EES5_S5_S5_.has_recursion, 0
	.set _ZL33flash_attn_stream_k_fixup_generalILi128ELi1ELi1EEvPfPK15HIP_vector_typeIfLj2EEiiiiS1_IjLj3EES5_S5_S5_.has_indirect_call, 0
	.section	.AMDGPU.csdata,"",@progbits
; Kernel info:
; codeLenInByte = 2900
; TotalNumSgprs: 33
; NumVgprs: 17
; ScratchSize: 0
; MemoryBound: 0
; FloatMode: 240
; IeeeMode: 1
; LDSByteSize: 0 bytes/workgroup (compile time only)
; SGPRBlocks: 0
; VGPRBlocks: 2
; NumSGPRsForWavesPerEU: 33
; NumVGPRsForWavesPerEU: 17
; Occupancy: 16
; WaveLimiterHint : 0
; COMPUTE_PGM_RSRC2:SCRATCH_EN: 0
; COMPUTE_PGM_RSRC2:USER_SGPR: 6
; COMPUTE_PGM_RSRC2:TRAP_HANDLER: 0
; COMPUTE_PGM_RSRC2:TGID_X_EN: 1
; COMPUTE_PGM_RSRC2:TGID_Y_EN: 1
; COMPUTE_PGM_RSRC2:TGID_Z_EN: 1
; COMPUTE_PGM_RSRC2:TIDIG_COMP_CNT: 0
	.section	.text._ZL26flash_attn_combine_resultsILi128EEvPKfPK15HIP_vector_typeIfLj2EEPfi,"axG",@progbits,_ZL26flash_attn_combine_resultsILi128EEvPKfPK15HIP_vector_typeIfLj2EEPfi,comdat
	.globl	_ZL26flash_attn_combine_resultsILi128EEvPKfPK15HIP_vector_typeIfLj2EEPfi ; -- Begin function _ZL26flash_attn_combine_resultsILi128EEvPKfPK15HIP_vector_typeIfLj2EEPfi
	.p2align	8
	.type	_ZL26flash_attn_combine_resultsILi128EEvPKfPK15HIP_vector_typeIfLj2EEPfi,@function
_ZL26flash_attn_combine_resultsILi128EEvPKfPK15HIP_vector_typeIfLj2EEPfi: ; @_ZL26flash_attn_combine_resultsILi128EEvPKfPK15HIP_vector_typeIfLj2EEPfi
; %bb.0:
	s_clause 0x3
	s_load_dwordx2 s[2:3], s[4:5], 0x20
	s_load_dword s9, s[4:5], 0x18
	s_load_dwordx4 s[12:15], s[4:5], 0x0
	s_load_dwordx2 s[10:11], s[4:5], 0x10
	v_lshlrev_b32_e32 v5, 2, v0
	s_mov_b32 s4, exec_lo
	s_waitcnt lgkmcnt(0)
	s_mul_i32 s0, s2, s8
	s_lshl_b32 s1, s9, 1
	s_add_i32 s0, s0, s6
	s_mul_i32 s6, s0, s3
	s_add_i32 s6, s6, s7
	s_mul_i32 s2, s6, s9
	v_cmpx_gt_i32_e64 s1, v0
	s_cbranch_execz .LBB17_3
; %bb.1:
	s_ashr_i32 s3, s2, 31
	v_add_nc_u32_e32 v3, 0, v5
	s_lshl_b64 s[16:17], s[2:3], 3
	v_mov_b32_e32 v4, v0
	s_add_u32 s0, s14, s16
	s_addc_u32 s3, s15, s17
	v_add_co_u32 v1, s0, s0, v5
	v_add_co_ci_u32_e64 v2, null, s3, 0, s0
	s_mov_b32 s3, 0
	.p2align	6
.LBB17_2:                               ; =>This Inner Loop Header: Depth=1
	global_load_dword v6, v[1:2], off
	v_add_nc_u32_e32 v4, 0x80, v4
	v_add_co_u32 v1, vcc_lo, 0x200, v1
	v_add_co_ci_u32_e64 v2, null, 0, v2, vcc_lo
	v_cmp_le_i32_e64 s0, s1, v4
	s_or_b32 s3, s0, s3
	s_waitcnt vmcnt(0)
	ds_write_b32 v3, v6
	v_add_nc_u32_e32 v3, 0x200, v3
	s_andn2_b32 exec_lo, exec_lo, s3
	s_cbranch_execnz .LBB17_2
.LBB17_3:
	s_or_b32 exec_lo, exec_lo, s4
	v_mov_b32_e32 v1, 0
	s_waitcnt lgkmcnt(0)
	s_barrier
	buffer_gl0_inv
	s_cmp_lt_i32 s9, 2
	ds_read_b32 v6, v1
	s_cbranch_scc1 .LBB17_11
; %bb.4:
	s_add_i32 s1, s9, -2
	s_add_i32 s0, s9, -1
	s_cmp_lt_u32 s1, 7
	s_cbranch_scc1 .LBB17_8
; %bb.5:
	s_mov_b32 s3, 0
	s_add_i32 s1, 0, 8
	s_and_b32 s4, s0, -8
	.p2align	6
.LBB17_6:                               ; =>This Inner Loop Header: Depth=1
	v_mov_b32_e32 v9, s1
	s_mov_b32 s5, s3
	s_add_i32 s3, s3, 8
	s_add_i32 s1, s1, 64
	s_cmp_eq_u32 s4, s3
	ds_read2_b32 v[1:2], v9 offset1:2
	ds_read2_b32 v[3:4], v9 offset0:4 offset1:6
	ds_read2_b32 v[7:8], v9 offset0:8 offset1:10
	;; [unrolled: 1-line block ×3, first 2 shown]
	s_waitcnt lgkmcnt(3)
	v_max3_f32 v1, v6, v1, v2
	s_waitcnt lgkmcnt(2)
	v_max3_f32 v1, v1, v3, v4
	;; [unrolled: 2-line block ×4, first 2 shown]
	s_cbranch_scc0 .LBB17_6
; %bb.7:
	s_add_i32 s1, s5, 9
	s_and_b32 s0, s0, 7
	s_cmp_eq_u32 s0, 0
	s_cbranch_scc0 .LBB17_9
	s_branch .LBB17_11
.LBB17_8:
	s_mov_b32 s1, 1
	s_and_b32 s0, s0, 7
	s_cmp_eq_u32 s0, 0
	s_cbranch_scc1 .LBB17_11
.LBB17_9:
	s_lshl_b32 s1, s1, 3
	s_add_i32 s1, s1, 0
.LBB17_10:                              ; =>This Inner Loop Header: Depth=1
	v_mov_b32_e32 v1, s1
	s_waitcnt lgkmcnt(0)
	v_max_f32_e32 v2, v6, v6
	s_add_i32 s0, s0, -1
	s_add_i32 s1, s1, 8
	s_cmp_lg_u32 s0, 0
	ds_read_b32 v1, v1
	s_waitcnt lgkmcnt(0)
	v_max_f32_e32 v1, v1, v1
	v_max_f32_e32 v6, v2, v1
	s_cbranch_scc1 .LBB17_10
.LBB17_11:
	s_cmp_lt_i32 s9, 1
	s_cbranch_scc1 .LBB17_16
; %bb.12:
	s_lshl_b32 s0, s2, 7
	s_ashr_i32 s1, s0, 31
	s_lshl_b64 s[0:1], s[0:1], 2
	s_add_u32 s7, s12, s0
	s_addc_u32 s8, s13, s1
	s_cmp_lt_u32 s9, 8
	s_cbranch_scc1 .LBB17_17
; %bb.13:
	v_or_b32_e32 v1, 0x380, v0
	v_mov_b32_e32 v4, 0
	v_mov_b32_e32 v7, 0
	;; [unrolled: 1-line block ×3, first 2 shown]
	s_and_b32 s12, s9, 0x7ffffff8
	s_mov_b32 s13, 0
	s_mov_b32 s14, 0
.LBB17_14:                              ; =>This Inner Loop Header: Depth=1
	v_add_nc_u32_e32 v3, 0xfffffc80, v1
	v_mov_b32_e32 v2, v4
	v_mov_b32_e32 v21, s14
	s_add_i32 s13, s13, 8
	s_add_i32 s14, s14, 64
	v_lshlrev_b64 v[9:10], 2, v[3:4]
	v_add_nc_u32_e32 v3, 0xfffffd00, v1
	v_lshlrev_b64 v[11:12], 2, v[1:2]
	s_cmp_eq_u32 s12, s13
	v_lshlrev_b64 v[13:14], 2, v[3:4]
	v_add_nc_u32_e32 v3, 0xfffffd80, v1
	v_add_co_u32 v9, vcc_lo, s7, v9
	v_add_co_ci_u32_e64 v10, null, s8, v10, vcc_lo
	v_add_co_u32 v13, vcc_lo, s7, v13
	v_lshlrev_b64 v[15:16], 2, v[3:4]
	v_add_nc_u32_e32 v3, 0xfffffe00, v1
	v_add_co_ci_u32_e64 v14, null, s8, v14, vcc_lo
	s_clause 0x1
	global_load_dword v25, v[9:10], off
	global_load_dword v26, v[13:14], off
	v_lshlrev_b64 v[9:10], 2, v[3:4]
	v_add_nc_u32_e32 v3, 0xfffffe80, v1
	v_add_co_u32 v13, vcc_lo, s7, v15
	v_add_co_ci_u32_e64 v14, null, s8, v16, vcc_lo
	v_add_co_u32 v9, vcc_lo, s7, v9
	v_lshlrev_b64 v[15:16], 2, v[3:4]
	v_add_nc_u32_e32 v3, 0xffffff00, v1
	v_add_co_ci_u32_e64 v10, null, s8, v10, vcc_lo
	s_clause 0x1
	global_load_dword v27, v[13:14], off
	global_load_dword v28, v[9:10], off
	v_lshlrev_b64 v[13:14], 2, v[3:4]
	v_add_nc_u32_e32 v3, 0xffffff80, v1
	v_add_co_u32 v9, vcc_lo, s7, v15
	v_add_co_ci_u32_e64 v10, null, s8, v16, vcc_lo
	v_add_co_u32 v13, vcc_lo, s7, v13
	v_lshlrev_b64 v[2:3], 2, v[3:4]
	v_add_co_ci_u32_e64 v14, null, s8, v14, vcc_lo
	s_clause 0x1
	global_load_dword v29, v[9:10], off
	global_load_dword v30, v[13:14], off
	v_add_co_u32 v2, vcc_lo, s7, v2
	v_add_co_ci_u32_e64 v3, null, s8, v3, vcc_lo
	v_add_co_u32 v9, vcc_lo, s7, v11
	v_add_co_ci_u32_e64 v10, null, s8, v12, vcc_lo
	s_clause 0x1
	global_load_dword v2, v[2:3], off
	global_load_dword v3, v[9:10], off
	ds_read2_b64 v[9:12], v21 offset1:1
	ds_read2_b64 v[13:16], v21 offset0:2 offset1:3
	ds_read2_b64 v[17:20], v21 offset0:4 offset1:5
	ds_read2_b64 v[21:24], v21 offset0:6 offset1:7
	v_add_nc_u32_e32 v1, 0x400, v1
	s_waitcnt lgkmcnt(3)
	v_sub_f32_e32 v9, v9, v6
	v_sub_f32_e32 v11, v11, v6
	s_waitcnt lgkmcnt(2)
	v_sub_f32_e32 v13, v13, v6
	v_sub_f32_e32 v15, v15, v6
	s_waitcnt lgkmcnt(1)
	v_sub_f32_e32 v17, v17, v6
	v_mul_f32_e32 v31, 0x3fb8aa3b, v9
	v_mul_f32_e32 v32, 0x3fb8aa3b, v11
	;; [unrolled: 1-line block ×4, first 2 shown]
	v_sub_f32_e32 v19, v19, v6
	v_fma_f32 v39, 0x3fb8aa3b, v9, -v31
	v_rndne_f32_e32 v40, v31
	v_fma_f32 v41, 0x3fb8aa3b, v11, -v32
	v_rndne_f32_e32 v42, v32
	v_fma_f32 v43, 0x3fb8aa3b, v13, -v33
	v_fmac_f32_e32 v39, 0x32a5705f, v9
	v_sub_f32_e32 v31, v31, v40
	v_rndne_f32_e32 v44, v33
	v_fmac_f32_e32 v41, 0x32a5705f, v11
	v_sub_f32_e32 v32, v32, v42
	v_fmac_f32_e32 v43, 0x32a5705f, v13
	v_add_f32_e32 v31, v31, v39
	v_sub_f32_e32 v33, v33, v44
	v_mul_f32_e32 v35, 0x3fb8aa3b, v17
	v_add_f32_e32 v32, v32, v41
	v_fma_f32 v45, 0x3fb8aa3b, v15, -v34
	v_exp_f32_e32 v31, v31
	v_rndne_f32_e32 v46, v34
	v_add_f32_e32 v33, v33, v43
	v_cvt_i32_f32_e32 v40, v40
	v_exp_f32_e32 v32, v32
	s_waitcnt lgkmcnt(0)
	v_sub_f32_e32 v21, v21, v6
	v_mul_f32_e32 v36, 0x3fb8aa3b, v19
	v_fma_f32 v47, 0x3fb8aa3b, v17, -v35
	v_rndne_f32_e32 v48, v35
	v_cvt_i32_f32_e32 v42, v42
	v_fmac_f32_e32 v45, 0x32a5705f, v15
	v_sub_f32_e32 v34, v34, v46
	v_exp_f32_e32 v33, v33
	v_ldexp_f32 v31, v31, v40
	v_cmp_ngt_f32_e64 s5, 0xc2ce8ed0, v9
	v_sub_f32_e32 v23, v23, v6
	v_mul_f32_e32 v37, 0x3fb8aa3b, v21
	v_fma_f32 v49, 0x3fb8aa3b, v19, -v36
	v_rndne_f32_e32 v50, v36
	v_cvt_i32_f32_e32 v44, v44
	v_fmac_f32_e32 v47, 0x32a5705f, v17
	v_sub_f32_e32 v35, v35, v48
	v_add_f32_e32 v34, v34, v45
	v_ldexp_f32 v32, v32, v42
	v_cndmask_b32_e64 v31, 0, v31, s5
	v_cmp_ngt_f32_e64 s5, 0xc2ce8ed0, v11
	v_mul_f32_e32 v38, 0x3fb8aa3b, v23
	v_fma_f32 v51, 0x3fb8aa3b, v21, -v37
	v_rndne_f32_e32 v39, v37
	v_fmac_f32_e32 v49, 0x32a5705f, v19
	v_sub_f32_e32 v36, v36, v50
	v_add_f32_e32 v35, v35, v47
	v_exp_f32_e32 v34, v34
	v_ldexp_f32 v33, v33, v44
	v_cmp_ngt_f32_e32 vcc_lo, 0xc2ce8ed0, v13
	v_cndmask_b32_e64 v32, 0, v32, s5
	v_cmp_nlt_f32_e64 s5, 0x42b17218, v9
	v_fma_f32 v41, 0x3fb8aa3b, v23, -v38
	v_rndne_f32_e32 v43, v38
	v_cvt_i32_f32_e32 v46, v46
	v_fmac_f32_e32 v51, 0x32a5705f, v21
	v_sub_f32_e32 v37, v37, v39
	v_add_f32_e32 v36, v36, v49
	v_exp_f32_e32 v35, v35
	v_cndmask_b32_e64 v9, 0x7f800000, v31, s5
	v_cndmask_b32_e32 v31, 0, v33, vcc_lo
	v_cmp_nlt_f32_e32 vcc_lo, 0x42b17218, v11
	v_cvt_i32_f32_e32 v48, v48
	v_fmac_f32_e32 v41, 0x32a5705f, v23
	v_sub_f32_e32 v38, v38, v43
	v_add_f32_e32 v37, v37, v51
	v_exp_f32_e32 v36, v36
	v_ldexp_f32 v34, v34, v46
	v_cmp_ngt_f32_e64 s0, 0xc2ce8ed0, v15
	v_cndmask_b32_e32 v11, 0x7f800000, v32, vcc_lo
	v_fmac_f32_e32 v8, v9, v10
	v_cmp_nlt_f32_e32 vcc_lo, 0x42b17218, v13
	v_cvt_i32_f32_e32 v50, v50
	v_add_f32_e32 v38, v38, v41
	v_exp_f32_e32 v37, v37
	v_ldexp_f32 v35, v35, v48
	v_cmp_ngt_f32_e64 s1, 0xc2ce8ed0, v17
	v_cndmask_b32_e32 v10, 0x7f800000, v31, vcc_lo
	v_fmac_f32_e32 v8, v11, v12
	v_cmp_nlt_f32_e32 vcc_lo, 0x42b17218, v15
	v_cvt_i32_f32_e32 v39, v39
	v_exp_f32_e32 v38, v38
	v_ldexp_f32 v36, v36, v50
	v_cmp_ngt_f32_e64 s2, 0xc2ce8ed0, v19
	v_fmac_f32_e32 v8, v10, v14
	v_cvt_i32_f32_e32 v43, v43
	v_ldexp_f32 v37, v37, v39
	v_cmp_ngt_f32_e64 s3, 0xc2ce8ed0, v21
	v_cmp_ngt_f32_e64 s4, 0xc2ce8ed0, v23
	v_ldexp_f32 v38, v38, v43
	s_waitcnt vmcnt(7)
	v_fmac_f32_e32 v7, v25, v9
	v_cndmask_b32_e64 v9, 0, v34, s0
	s_waitcnt vmcnt(6)
	v_fmac_f32_e32 v7, v26, v11
	v_cndmask_b32_e64 v11, 0, v35, s1
	v_cndmask_b32_e32 v9, 0x7f800000, v9, vcc_lo
	v_cmp_nlt_f32_e32 vcc_lo, 0x42b17218, v17
	v_fmac_f32_e32 v8, v9, v16
	v_cndmask_b32_e32 v11, 0x7f800000, v11, vcc_lo
	v_cmp_nlt_f32_e32 vcc_lo, 0x42b17218, v19
	s_waitcnt vmcnt(5)
	v_fmac_f32_e32 v7, v27, v10
	v_cndmask_b32_e64 v10, 0, v36, s2
	v_fmac_f32_e32 v8, v11, v18
	s_waitcnt vmcnt(4)
	v_fmac_f32_e32 v7, v28, v9
	v_cndmask_b32_e64 v9, 0, v37, s3
	v_cndmask_b32_e32 v10, 0x7f800000, v10, vcc_lo
	v_cmp_nlt_f32_e32 vcc_lo, 0x42b17218, v21
	v_fmac_f32_e32 v8, v10, v20
	v_cndmask_b32_e32 v9, 0x7f800000, v9, vcc_lo
	v_cmp_nlt_f32_e32 vcc_lo, 0x42b17218, v23
	s_waitcnt vmcnt(3)
	v_fmac_f32_e32 v7, v29, v11
	v_cndmask_b32_e64 v11, 0, v38, s4
	v_fmac_f32_e32 v8, v9, v22
	s_waitcnt vmcnt(2)
	v_fmac_f32_e32 v7, v30, v10
	v_cndmask_b32_e32 v10, 0x7f800000, v11, vcc_lo
	s_waitcnt vmcnt(1)
	v_fmac_f32_e32 v7, v2, v9
	v_fmac_f32_e32 v8, v10, v24
	s_waitcnt vmcnt(0)
	v_fmac_f32_e32 v7, v3, v10
	s_cbranch_scc0 .LBB17_14
; %bb.15:
	s_and_b32 s0, s9, 7
	s_cmp_eq_u32 s0, 0
	s_cbranch_scc0 .LBB17_18
	s_branch .LBB17_20
.LBB17_16:
	v_mov_b32_e32 v0, 0x7fc00000
	s_branch .LBB17_21
.LBB17_17:
	v_mov_b32_e32 v7, 0
	v_mov_b32_e32 v8, 0
	s_mov_b32 s12, 0
	s_and_b32 s0, s9, 7
	s_cmp_eq_u32 s0, 0
	s_cbranch_scc1 .LBB17_20
.LBB17_18:
	v_lshl_or_b32 v0, s12, 7, v0
	v_mov_b32_e32 v1, 0
	s_lshl_b32 s1, s12, 3
	s_add_i32 s1, s1, 0
	s_inst_prefetch 0x1
	.p2align	6
.LBB17_19:                              ; =>This Inner Loop Header: Depth=1
	v_lshlrev_b64 v[2:3], 2, v[0:1]
	v_add_nc_u32_e32 v0, 0x80, v0
	s_add_i32 s0, s0, -1
	v_add_co_u32 v2, vcc_lo, s7, v2
	v_add_co_ci_u32_e64 v3, null, s8, v3, vcc_lo
	global_load_dword v4, v[2:3], off
	v_mov_b32_e32 v2, s1
	s_add_i32 s1, s1, 8
	s_cmp_lg_u32 s0, 0
	ds_read_b64 v[2:3], v2
	s_waitcnt lgkmcnt(0)
	v_sub_f32_e32 v2, v2, v6
	v_mul_f32_e32 v9, 0x3fb8aa3b, v2
	v_cmp_ngt_f32_e32 vcc_lo, 0xc2ce8ed0, v2
	v_fma_f32 v10, 0x3fb8aa3b, v2, -v9
	v_rndne_f32_e32 v11, v9
	v_fmac_f32_e32 v10, 0x32a5705f, v2
	v_sub_f32_e32 v9, v9, v11
	v_add_f32_e32 v9, v9, v10
	v_cvt_i32_f32_e32 v10, v11
	v_exp_f32_e32 v9, v9
	v_ldexp_f32 v9, v9, v10
	v_cndmask_b32_e32 v9, 0, v9, vcc_lo
	v_cmp_nlt_f32_e32 vcc_lo, 0x42b17218, v2
	v_cndmask_b32_e32 v2, 0x7f800000, v9, vcc_lo
	v_fmac_f32_e32 v8, v2, v3
	s_waitcnt vmcnt(0)
	v_fmac_f32_e32 v7, v4, v2
	s_cbranch_scc1 .LBB17_19
.LBB17_20:
	s_inst_prefetch 0x2
	v_div_scale_f32 v0, null, v8, v8, v7
	v_rcp_f32_e32 v1, v0
	v_fma_f32 v2, -v0, v1, 1.0
	v_fmac_f32_e32 v1, v2, v1
	v_div_scale_f32 v2, vcc_lo, v7, v8, v7
	v_mul_f32_e32 v3, v2, v1
	v_fma_f32 v4, -v0, v3, v2
	v_fmac_f32_e32 v3, v4, v1
	v_fma_f32 v0, -v0, v3, v2
	v_div_fmas_f32 v0, v0, v1, v3
	v_div_fixup_f32 v0, v0, v8, v7
.LBB17_21:
	s_lshl_b32 s0, s6, 7
	s_ashr_i32 s1, s0, 31
	s_lshl_b64 s[0:1], s[0:1], 2
	s_add_u32 s0, s10, s0
	s_addc_u32 s1, s11, s1
	global_store_dword v5, v0, s[0:1]
	s_endpgm
	.section	.rodata,"a",@progbits
	.p2align	6, 0x0
	.amdhsa_kernel _ZL26flash_attn_combine_resultsILi128EEvPKfPK15HIP_vector_typeIfLj2EEPfi
		.amdhsa_group_segment_fixed_size 0
		.amdhsa_private_segment_fixed_size 0
		.amdhsa_kernarg_size 288
		.amdhsa_user_sgpr_count 6
		.amdhsa_user_sgpr_private_segment_buffer 1
		.amdhsa_user_sgpr_dispatch_ptr 0
		.amdhsa_user_sgpr_queue_ptr 0
		.amdhsa_user_sgpr_kernarg_segment_ptr 1
		.amdhsa_user_sgpr_dispatch_id 0
		.amdhsa_user_sgpr_flat_scratch_init 0
		.amdhsa_user_sgpr_private_segment_size 0
		.amdhsa_wavefront_size32 1
		.amdhsa_uses_dynamic_stack 0
		.amdhsa_system_sgpr_private_segment_wavefront_offset 0
		.amdhsa_system_sgpr_workgroup_id_x 1
		.amdhsa_system_sgpr_workgroup_id_y 1
		.amdhsa_system_sgpr_workgroup_id_z 1
		.amdhsa_system_sgpr_workgroup_info 0
		.amdhsa_system_vgpr_workitem_id 0
		.amdhsa_next_free_vgpr 52
		.amdhsa_next_free_sgpr 18
		.amdhsa_reserve_vcc 1
		.amdhsa_reserve_flat_scratch 0
		.amdhsa_float_round_mode_32 0
		.amdhsa_float_round_mode_16_64 0
		.amdhsa_float_denorm_mode_32 3
		.amdhsa_float_denorm_mode_16_64 3
		.amdhsa_dx10_clamp 1
		.amdhsa_ieee_mode 1
		.amdhsa_fp16_overflow 0
		.amdhsa_workgroup_processor_mode 1
		.amdhsa_memory_ordered 1
		.amdhsa_forward_progress 1
		.amdhsa_shared_vgpr_count 0
		.amdhsa_exception_fp_ieee_invalid_op 0
		.amdhsa_exception_fp_denorm_src 0
		.amdhsa_exception_fp_ieee_div_zero 0
		.amdhsa_exception_fp_ieee_overflow 0
		.amdhsa_exception_fp_ieee_underflow 0
		.amdhsa_exception_fp_ieee_inexact 0
		.amdhsa_exception_int_div_zero 0
	.end_amdhsa_kernel
	.section	.text._ZL26flash_attn_combine_resultsILi128EEvPKfPK15HIP_vector_typeIfLj2EEPfi,"axG",@progbits,_ZL26flash_attn_combine_resultsILi128EEvPKfPK15HIP_vector_typeIfLj2EEPfi,comdat
.Lfunc_end17:
	.size	_ZL26flash_attn_combine_resultsILi128EEvPKfPK15HIP_vector_typeIfLj2EEPfi, .Lfunc_end17-_ZL26flash_attn_combine_resultsILi128EEvPKfPK15HIP_vector_typeIfLj2EEPfi
                                        ; -- End function
	.set _ZL26flash_attn_combine_resultsILi128EEvPKfPK15HIP_vector_typeIfLj2EEPfi.num_vgpr, 52
	.set _ZL26flash_attn_combine_resultsILi128EEvPKfPK15HIP_vector_typeIfLj2EEPfi.num_agpr, 0
	.set _ZL26flash_attn_combine_resultsILi128EEvPKfPK15HIP_vector_typeIfLj2EEPfi.numbered_sgpr, 18
	.set _ZL26flash_attn_combine_resultsILi128EEvPKfPK15HIP_vector_typeIfLj2EEPfi.num_named_barrier, 0
	.set _ZL26flash_attn_combine_resultsILi128EEvPKfPK15HIP_vector_typeIfLj2EEPfi.private_seg_size, 0
	.set _ZL26flash_attn_combine_resultsILi128EEvPKfPK15HIP_vector_typeIfLj2EEPfi.uses_vcc, 1
	.set _ZL26flash_attn_combine_resultsILi128EEvPKfPK15HIP_vector_typeIfLj2EEPfi.uses_flat_scratch, 0
	.set _ZL26flash_attn_combine_resultsILi128EEvPKfPK15HIP_vector_typeIfLj2EEPfi.has_dyn_sized_stack, 0
	.set _ZL26flash_attn_combine_resultsILi128EEvPKfPK15HIP_vector_typeIfLj2EEPfi.has_recursion, 0
	.set _ZL26flash_attn_combine_resultsILi128EEvPKfPK15HIP_vector_typeIfLj2EEPfi.has_indirect_call, 0
	.section	.AMDGPU.csdata,"",@progbits
; Kernel info:
; codeLenInByte = 2264
; TotalNumSgprs: 20
; NumVgprs: 52
; ScratchSize: 0
; MemoryBound: 0
; FloatMode: 240
; IeeeMode: 1
; LDSByteSize: 0 bytes/workgroup (compile time only)
; SGPRBlocks: 0
; VGPRBlocks: 6
; NumSGPRsForWavesPerEU: 20
; NumVGPRsForWavesPerEU: 52
; Occupancy: 16
; WaveLimiterHint : 0
; COMPUTE_PGM_RSRC2:SCRATCH_EN: 0
; COMPUTE_PGM_RSRC2:USER_SGPR: 6
; COMPUTE_PGM_RSRC2:TRAP_HANDLER: 0
; COMPUTE_PGM_RSRC2:TGID_X_EN: 1
; COMPUTE_PGM_RSRC2:TGID_Y_EN: 1
; COMPUTE_PGM_RSRC2:TGID_Z_EN: 1
; COMPUTE_PGM_RSRC2:TIDIG_COMP_CNT: 0
	.section	.text._ZL18flash_attn_ext_vecILi128ELi1EL9ggml_type7ELS0_8ELb1EEvPKcS2_S2_S2_S2_PKiPfP15HIP_vector_typeIfLj2EEffffjfiS6_IjLj3EEiiiiiiiiiiiliiliiiiil,"axG",@progbits,_ZL18flash_attn_ext_vecILi128ELi1EL9ggml_type7ELS0_8ELb1EEvPKcS2_S2_S2_S2_PKiPfP15HIP_vector_typeIfLj2EEffffjfiS6_IjLj3EEiiiiiiiiiiiliiliiiiil,comdat
	.globl	_ZL18flash_attn_ext_vecILi128ELi1EL9ggml_type7ELS0_8ELb1EEvPKcS2_S2_S2_S2_PKiPfP15HIP_vector_typeIfLj2EEffffjfiS6_IjLj3EEiiiiiiiiiiiliiliiiiil ; -- Begin function _ZL18flash_attn_ext_vecILi128ELi1EL9ggml_type7ELS0_8ELb1EEvPKcS2_S2_S2_S2_PKiPfP15HIP_vector_typeIfLj2EEffffjfiS6_IjLj3EEiiiiiiiiiiiliiliiiiil
	.p2align	8
	.type	_ZL18flash_attn_ext_vecILi128ELi1EL9ggml_type7ELS0_8ELb1EEvPKcS2_S2_S2_S2_PKiPfP15HIP_vector_typeIfLj2EEffffjfiS6_IjLj3EEiiiiiiiiiiiliiliiiiil,@function
_ZL18flash_attn_ext_vecILi128ELi1EL9ggml_type7ELS0_8ELb1EEvPKcS2_S2_S2_S2_PKiPfP15HIP_vector_typeIfLj2EEffffjfiS6_IjLj3EEiiiiiiiiiiiliiliiiiil: ; @_ZL18flash_attn_ext_vecILi128ELi1EL9ggml_type7ELS0_8ELb1EEvPKcS2_S2_S2_S2_PKiPfP15HIP_vector_typeIfLj2EEffffjfiS6_IjLj3EEiiiiiiiiiiiliiliiiiil
; %bb.0:
	s_clause 0x4
	s_load_dwordx2 s[28:29], s[4:5], 0x64
	s_load_dwordx2 s[34:35], s[4:5], 0x80
	;; [unrolled: 1-line block ×3, first 2 shown]
	s_load_dwordx4 s[24:27], s[4:5], 0x40
	s_load_dwordx2 s[36:37], s[4:5], 0x50
	v_mov_b32_e32 v39, 1.0
	s_waitcnt lgkmcnt(0)
	v_cvt_f32_u32_e32 v2, s29
	s_sub_i32 s1, 0, s29
	v_rcp_iflag_f32_e32 v2, v2
	v_mul_f32_e32 v2, 0x4f7ffffe, v2
	v_cvt_u32_f32_e32 v2, v2
	v_readfirstlane_b32 s0, v2
	s_mul_i32 s1, s1, s0
	s_mul_hi_u32 s1, s0, s1
	s_add_i32 s0, s0, s1
	s_mul_hi_u32 s0, s8, s0
	s_mul_i32 s1, s0, s29
	s_add_i32 s2, s0, 1
	s_sub_i32 s1, s8, s1
	s_sub_i32 s3, s1, s29
	s_cmp_ge_u32 s1, s29
	s_cselect_b32 s0, s2, s0
	s_cselect_b32 s1, s3, s1
	s_add_i32 s2, s0, 1
	s_cmp_ge_u32 s1, s29
	s_cselect_b32 s33, s2, s0
	s_abs_i32 s0, s35
	s_abs_i32 s9, s29
	v_cvt_f32_u32_e32 v2, s0
	s_sub_i32 s2, 0, s0
	s_xor_b32 s3, s29, s35
	s_ashr_i32 s3, s3, 31
	v_rcp_iflag_f32_e32 v2, v2
	v_mul_f32_e32 v2, 0x4f7ffffe, v2
	v_cvt_u32_f32_e32 v2, v2
	v_readfirstlane_b32 s1, v2
	s_mul_i32 s2, s2, s1
	s_mul_hi_u32 s2, s1, s2
	s_add_i32 s1, s1, s2
	s_mul_i32 s2, s33, s29
	s_mul_hi_u32 s1, s9, s1
	s_sub_i32 s30, s8, s2
	s_mul_i32 s10, s1, s0
	s_add_i32 s8, s1, 1
	s_sub_i32 s2, s9, s10
	s_sub_i32 s9, s2, s0
	s_cmp_ge_u32 s2, s0
	s_cselect_b32 s1, s8, s1
	s_cselect_b32 s2, s9, s2
	s_add_i32 s8, s1, 1
	s_cmp_ge_u32 s2, s0
	s_cselect_b32 s0, s8, s1
	s_abs_i32 s40, s38
	s_xor_b32 s0, s0, s3
	v_cvt_f32_u32_e32 v2, s40
	s_sub_i32 s43, s0, s3
	v_cmp_le_f32_e64 s0, s25, 0
	s_abs_i32 s42, s43
	s_abs_i32 s35, s30
	v_cvt_f32_u32_e32 v3, s42
	v_rcp_iflag_f32_e32 v2, v2
	s_and_b32 vcc_lo, exec_lo, s0
	s_sub_i32 s0, 0, s40
	s_sub_i32 s1, 0, s42
	v_rcp_iflag_f32_e32 v3, v3
	s_abs_i32 s41, s33
	v_mul_f32_e32 v2, 0x4f7ffffe, v2
	v_mul_f32_e32 v3, 0x4f7ffffe, v3
	v_cvt_u32_f32_e32 v2, v2
	v_cvt_u32_f32_e32 v3, v3
	v_readfirstlane_b32 s3, v2
	v_readfirstlane_b32 s25, v3
	s_mul_i32 s0, s0, s3
	s_mul_hi_u32 s0, s3, s0
	s_mul_i32 s1, s1, s25
	s_add_i32 s3, s3, s0
	s_mul_hi_u32 s1, s25, s1
	s_add_i32 s25, s25, s1
	s_cbranch_vccnz .LBB18_2
; %bb.1:
	v_sub_co_u32 v3, vcc_lo, s30, s36
	v_mov_b32_e32 v2, s26
	s_add_i32 s0, s30, 1
	v_lshlrev_b32_e32 v3, 1, v3
	v_cndmask_b32_e32 v2, s27, v2, vcc_lo
	v_or_b32_e32 v3, 1, v3
	v_cndmask_b32_e64 v3, v3, s0, vcc_lo
	v_cmp_neq_f32_e32 vcc_lo, 1.0, v2
	s_mov_b32 s0, 0x3e76c4e1
	v_cvt_f32_i32_e32 v3, v3
	v_cndmask_b32_e32 v4, 1.0, v3, vcc_lo
	v_cmp_neq_f32_e32 vcc_lo, 0, v4
	v_cndmask_b32_e32 v5, 1.0, v2, vcc_lo
	v_frexp_mant_f32_e64 v2, |v5|
	v_cmp_eq_f32_e64 s2, 0, v5
	v_cmp_gt_f32_e32 vcc_lo, 0x3f2aaaab, v2
	v_cndmask_b32_e64 v3, 1.0, 2.0, vcc_lo
	v_mul_f32_e32 v2, v2, v3
	v_add_f32_e32 v3, 1.0, v2
	v_add_f32_e32 v7, -1.0, v2
	v_rcp_f32_e32 v6, v3
	v_add_f32_e32 v9, -1.0, v3
	v_sub_f32_e32 v2, v2, v9
	v_mul_f32_e32 v8, v7, v6
	v_mul_f32_e32 v10, v3, v8
	v_fma_f32 v3, v8, v3, -v10
	v_fmac_f32_e32 v3, v8, v2
	v_add_f32_e32 v2, v10, v3
	v_sub_f32_e32 v9, v7, v2
	v_sub_f32_e32 v10, v2, v10
	;; [unrolled: 1-line block ×5, first 2 shown]
	v_add_f32_e32 v2, v3, v2
	v_add_f32_e32 v2, v9, v2
	v_mul_f32_e32 v2, v6, v2
	v_add_f32_e32 v6, v8, v2
	v_sub_f32_e32 v3, v6, v8
	v_mul_f32_e32 v7, v6, v6
	v_sub_f32_e32 v8, v2, v3
	v_fma_f32 v2, v6, v6, -v7
	v_add_f32_e32 v3, v8, v8
	v_fmac_f32_e32 v2, v6, v3
	v_add_f32_e32 v9, v7, v2
	v_fmaak_f32 v3, s0, v9, 0x3e91f4c4
	v_sub_f32_e32 v7, v9, v7
	v_mul_f32_e32 v14, v6, v9
	v_fmaak_f32 v3, v9, v3, 0x3ecccdef
	v_sub_f32_e32 v7, v2, v7
	v_fma_f32 v15, v9, v6, -v14
	v_mul_f32_e32 v10, v9, v3
	v_fmac_f32_e32 v15, v9, v8
	v_ldexp_f32 v8, v8, 1
	v_fma_f32 v11, v9, v3, -v10
	v_fmac_f32_e32 v15, v7, v6
	v_fmac_f32_e32 v11, v7, v3
	v_cvt_f64_f32_e64 v[2:3], |v5|
	v_add_f32_e32 v12, v10, v11
	v_sub_f32_e32 v10, v12, v10
	v_add_f32_e32 v13, 0x3f2aaaaa, v12
	v_sub_f32_e32 v10, v11, v10
	v_add_f32_e32 v11, 0xbf2aaaaa, v13
	v_add_f32_e32 v10, 0x31739010, v10
	v_sub_f32_e32 v11, v12, v11
	v_frexp_exp_i32_f64_e32 v2, v[2:3]
	v_add_f32_e32 v9, v10, v11
	v_add_f32_e32 v10, v14, v15
	;; [unrolled: 1-line block ×3, first 2 shown]
	v_sub_f32_e32 v12, v10, v14
	v_sub_f32_e32 v3, v13, v7
	v_mul_f32_e32 v11, v10, v7
	v_sub_f32_e32 v12, v15, v12
	v_add_f32_e32 v3, v9, v3
	v_fma_f32 v9, v10, v7, -v11
	v_subrev_co_ci_u32_e64 v2, null, 0, v2, vcc_lo
	v_fmac_f32_e32 v9, v10, v3
	v_ldexp_f32 v3, v6, 1
	v_cvt_f32_i32_e32 v2, v2
	v_fmac_f32_e32 v9, v12, v7
	v_add_f32_e32 v6, v11, v9
	v_add_f32_e32 v7, v3, v6
	v_sub_f32_e32 v10, v6, v11
	v_mul_f32_e32 v11, 0x3f317218, v2
	v_sub_f32_e32 v3, v7, v3
	v_sub_f32_e32 v9, v9, v10
	v_fma_f32 v10, 0x3f317218, v2, -v11
	v_sub_f32_e32 v3, v6, v3
	v_add_f32_e32 v6, v8, v9
	v_fmamk_f32 v2, v2, 0xb102e308, v10
	v_add_f32_e32 v3, v6, v3
	v_add_f32_e32 v6, v11, v2
	;; [unrolled: 1-line block ×3, first 2 shown]
	v_sub_f32_e32 v11, v6, v11
	v_add_f32_e32 v9, v6, v8
	v_sub_f32_e32 v7, v8, v7
	v_sub_f32_e32 v2, v2, v11
	;; [unrolled: 1-line block ×6, first 2 shown]
	v_add_f32_e32 v8, v2, v3
	v_sub_f32_e32 v6, v6, v12
	v_add_f32_e32 v6, v7, v6
	v_sub_f32_e32 v7, v8, v2
	;; [unrolled: 2-line block ×3, first 2 shown]
	v_sub_f32_e32 v3, v3, v7
	v_add_f32_e32 v10, v9, v6
	v_sub_f32_e32 v2, v2, v8
	v_sub_f32_e32 v7, v10, v9
	v_add_f32_e32 v2, v3, v2
	v_sub_f32_e32 v3, v6, v7
	v_add_f32_e32 v2, v2, v3
	v_add_f32_e32 v3, v10, v2
	v_sub_f32_e32 v6, v3, v10
	v_mul_f32_e32 v7, v4, v3
	v_sub_f32_e32 v2, v2, v6
	v_fma_f32 v3, v4, v3, -v7
	v_cmp_class_f32_e64 vcc_lo, v7, 0x204
	v_fmac_f32_e32 v3, v4, v2
	v_add_f32_e32 v2, v7, v3
	v_cndmask_b32_e32 v6, v2, v7, vcc_lo
	v_sub_f32_e32 v2, v2, v7
	v_cmp_eq_f32_e32 vcc_lo, 0x42b17218, v6
	v_sub_f32_e32 v2, v3, v2
	v_cndmask_b32_e64 v8, 0, 0x37000000, vcc_lo
	v_cmp_neq_f32_e64 vcc_lo, 0x7f800000, |v6|
	v_sub_f32_e32 v9, v6, v8
	v_cndmask_b32_e32 v2, 0, v2, vcc_lo
	v_trunc_f32_e32 v6, v4
	v_mul_f32_e32 v10, 0x3fb8aa3b, v9
	v_cmp_ngt_f32_e32 vcc_lo, 0xc2ce8ed0, v9
	v_add_f32_e32 v2, v8, v2
	v_fma_f32 v11, 0x3fb8aa3b, v9, -v10
	v_rndne_f32_e32 v12, v10
	v_fmamk_f32 v11, v9, 0x32a5705f, v11
	v_sub_f32_e32 v10, v10, v12
	v_cvt_i32_f32_e32 v7, v12
	v_add_f32_e32 v10, v10, v11
	v_exp_f32_e32 v10, v10
	v_ldexp_f32 v3, v10, v7
	v_mul_f32_e32 v7, 0.5, v4
	v_cndmask_b32_e32 v3, 0, v3, vcc_lo
	v_cmp_nlt_f32_e32 vcc_lo, 0x42b17218, v9
	v_trunc_f32_e32 v10, v7
	v_cndmask_b32_e32 v3, 0x7f800000, v3, vcc_lo
	v_cmp_eq_f32_e32 vcc_lo, v6, v4
	v_cmp_neq_f32_e64 s0, v10, v7
	v_fma_f32 v2, v3, v2, v3
	v_cmp_class_f32_e64 s1, v3, 0x204
	s_and_b32 s0, vcc_lo, s0
	v_cndmask_b32_e64 v6, 1.0, v5, s0
	v_cndmask_b32_e64 v2, v2, v3, s1
	v_cmp_gt_f32_e64 s1, 0, v4
	v_bfi_b32 v2, 0x7fffffff, v2, v6
	s_xor_b32 s1, s1, s2
	v_cndmask_b32_e64 v6, 0, v5, s0
	v_cndmask_b32_e64 v3, 0x7f800000, 0, s1
	v_cmp_class_f32_e64 s0, v5, 0x204
	v_cndmask_b32_e32 v4, 0x7fc00000, v2, vcc_lo
	v_cmp_gt_f32_e32 vcc_lo, 0, v5
	v_bfi_b32 v3, 0x7fffffff, v3, v6
	v_cndmask_b32_e32 v2, v2, v4, vcc_lo
	s_or_b32 vcc_lo, s2, s0
	v_cndmask_b32_e32 v2, v2, v3, vcc_lo
	v_cmp_o_f32_e32 vcc_lo, v5, v5
	v_cndmask_b32_e32 v39, 0x7fc00000, v2, vcc_lo
.LBB18_2:
	s_load_dwordx16 s[8:23], s[4:5], 0x0
	v_cmp_eq_u32_e64 s0, 0, v1
	v_mbcnt_lo_u32_b32 v38, -1, 0
	s_mul_hi_u32 s36, s35, s25
	s_mul_hi_u32 s38, s41, s3
	s_and_saveexec_b32 s25, s0
	s_cbranch_execz .LBB18_7
; %bb.3:
	s_load_dwordx4 s[44:47], s[4:5], 0x70
	v_lshlrev_b32_e32 v2, 4, v0
	v_xor_b32_e32 v13, 1, v38
	s_waitcnt lgkmcnt(0)
	s_mul_i32 s1, s33, s46
	s_mul_i32 s2, s44, s6
	;; [unrolled: 1-line block ×3, first 2 shown]
	s_add_i32 s1, s1, s2
	s_add_i32 s1, s1, s3
	s_ashr_i32 s3, s1, 31
	s_add_u32 s2, s8, s1
	s_addc_u32 s3, s9, s3
	s_mov_b32 s8, exec_lo
	global_load_dwordx4 v[9:12], v2, s[2:3]
	v_xor_b32_e32 v2, 4, v38
	v_cmp_gt_i32_e32 vcc_lo, 32, v2
	v_cndmask_b32_e32 v2, v38, v2, vcc_lo
	v_lshlrev_b32_e32 v2, 2, v2
	s_waitcnt vmcnt(0)
	v_mul_f32_e32 v4, s24, v9
	v_mul_f32_e32 v6, s24, v10
	;; [unrolled: 1-line block ×4, first 2 shown]
	v_xor_b32_e32 v10, 2, v38
	v_max_f32_e64 v3, |v4|, |v6|
	v_fma_f32 v9, s24, v9, v6
	v_cmp_gt_i32_e32 vcc_lo, 32, v10
	v_max3_f32 v3, v3, |v8|, |v7|
	v_fmac_f32_e32 v9, s24, v11
	v_cndmask_b32_e32 v10, v38, v10, vcc_lo
	v_cmp_gt_i32_e32 vcc_lo, 32, v13
	ds_bpermute_b32 v5, v2, v3
	v_fmac_f32_e32 v9, s24, v12
	v_lshlrev_b32_e32 v10, 2, v10
	v_cndmask_b32_e32 v13, v38, v13, vcc_lo
	ds_bpermute_b32 v2, v2, v9
	v_lshlrev_b32_e32 v13, 2, v13
	s_waitcnt lgkmcnt(1)
	v_max_f32_e32 v5, v5, v5
	v_max_f32_e32 v3, v3, v5
	s_waitcnt lgkmcnt(0)
	v_add_f32_e32 v2, v9, v2
	ds_bpermute_b32 v5, v10, v3
	s_waitcnt lgkmcnt(0)
	v_max_f32_e32 v5, v5, v5
	v_max_f32_e32 v3, v3, v5
	ds_bpermute_b32 v5, v13, v3
	s_waitcnt lgkmcnt(0)
	v_max_f32_e32 v5, v5, v5
	v_max_f32_e32 v11, v3, v5
	ds_bpermute_b32 v5, v10, v2
	v_div_scale_f32 v12, null, 0x42fe0000, 0x42fe0000, v11
	v_div_scale_f32 v9, vcc_lo, v11, 0x42fe0000, v11
	v_rcp_f32_e32 v14, v12
	v_fma_f32 v3, -v12, v14, 1.0
	v_fmac_f32_e32 v14, v3, v14
	s_waitcnt lgkmcnt(0)
	v_add_f32_e32 v3, v2, v5
	v_mul_f32_e32 v10, v9, v14
	ds_bpermute_b32 v5, v13, v3
	v_fma_f32 v15, -v12, v10, v9
	v_fmac_f32_e32 v10, v15, v14
	v_fma_f32 v2, -v12, v10, v9
	v_mov_b32_e32 v9, 0
	v_div_fmas_f32 v2, v2, v14, v10
	v_div_fixup_f32 v2, v2, 0x42fe0000, v11
	v_cmpx_neq_f32_e32 0, v2
	s_cbranch_execz .LBB18_5
; %bb.4:
	v_div_scale_f32 v9, null, v2, v2, v4
	v_div_scale_f32 v10, null, v2, v2, v6
	;; [unrolled: 1-line block ×3, first 2 shown]
	v_rcp_f32_e32 v11, v9
	v_div_scale_f32 v13, null, v2, v2, v7
	v_rcp_f32_e32 v14, v10
	v_rcp_f32_e32 v15, v12
	v_div_scale_f32 v19, vcc_lo, v4, v2, v4
	v_rcp_f32_e32 v16, v13
	v_fma_f32 v17, -v9, v11, 1.0
	v_fma_f32 v18, -v10, v14, 1.0
	;; [unrolled: 1-line block ×3, first 2 shown]
	v_fmac_f32_e32 v11, v17, v11
	v_div_scale_f32 v17, s1, v6, v2, v6
	v_fma_f32 v21, -v13, v16, 1.0
	v_fmac_f32_e32 v14, v18, v14
	v_fmac_f32_e32 v15, v20, v15
	v_div_scale_f32 v18, s2, v8, v2, v8
	v_fmac_f32_e32 v16, v21, v16
	v_mul_f32_e32 v21, v19, v11
	v_mul_f32_e32 v22, v17, v14
	;; [unrolled: 1-line block ×3, first 2 shown]
	v_div_scale_f32 v20, s3, v7, v2, v7
	v_fma_f32 v25, -v9, v21, v19
	v_fma_f32 v26, -v10, v22, v17
	;; [unrolled: 1-line block ×3, first 2 shown]
	v_mul_f32_e32 v24, v20, v16
	v_fmac_f32_e32 v21, v25, v11
	v_fmac_f32_e32 v22, v26, v14
	;; [unrolled: 1-line block ×3, first 2 shown]
	v_fma_f32 v28, -v13, v24, v20
	v_fma_f32 v9, -v9, v21, v19
	;; [unrolled: 1-line block ×4, first 2 shown]
	v_fmac_f32_e32 v24, v28, v16
	v_div_fmas_f32 v9, v9, v11, v21
	s_mov_b32 vcc_lo, s1
	v_div_fmas_f32 v10, v10, v14, v22
	s_mov_b32 vcc_lo, s2
	v_div_fixup_f32 v4, v9, v2, v4
	v_div_fmas_f32 v11, v12, v15, v23
	v_fma_f32 v12, -v13, v24, v20
	s_mov_b32 vcc_lo, s3
	v_div_fixup_f32 v6, v10, v2, v6
	v_div_fixup_f32 v8, v11, v2, v8
	v_div_fmas_f32 v11, v12, v16, v24
	v_trunc_f32_e32 v10, v6
	v_trunc_f32_e32 v12, v8
	v_div_fixup_f32 v7, v11, v2, v7
	v_trunc_f32_e32 v11, v4
	v_sub_f32_e32 v14, v6, v10
	v_sub_f32_e32 v9, v8, v12
	v_trunc_f32_e32 v13, v7
	v_sub_f32_e32 v16, v4, v11
	v_cmp_ge_f32_e64 s1, |v9|, 0.5
	v_sub_f32_e32 v15, v7, v13
	v_cndmask_b32_e64 v9, 0, 1.0, s1
	v_cmp_ge_f32_e64 s1, |v14|, 0.5
	v_bfi_b32 v8, 0x7fffffff, v9, v8
	v_cndmask_b32_e64 v9, 0, 1.0, s1
	v_cmp_ge_f32_e64 s1, |v15|, 0.5
	v_add_f32_e32 v8, v12, v8
	v_bfi_b32 v6, 0x7fffffff, v9, v6
	v_cndmask_b32_e64 v14, 0, 1.0, s1
	v_cmp_ge_f32_e64 s1, |v16|, 0.5
	v_mov_b32_e32 v9, 8
	v_cvt_i32_f32_e32 v8, v8
	v_add_f32_e32 v6, v10, v6
	v_bfi_b32 v7, 0x7fffffff, v14, v7
	v_cndmask_b32_e64 v12, 0, 1.0, s1
	v_and_b32_e32 v8, 0xff, v8
	v_cvt_i32_f32_e32 v6, v6
	v_add_f32_e32 v7, v13, v7
	v_bfi_b32 v4, 0x7fffffff, v12, v4
	v_lshlrev_b32_e32 v8, 16, v8
	v_lshlrev_b32_sdwa v6, v9, v6 dst_sel:DWORD dst_unused:UNUSED_PAD src0_sel:DWORD src1_sel:BYTE_0
	v_cvt_i32_f32_e32 v7, v7
	v_add_f32_e32 v4, v11, v4
	v_lshl_or_b32 v7, v7, 24, v8
	v_cvt_i32_f32_e32 v4, v4
	v_and_b32_e32 v4, 0xff, v4
	v_or3_b32 v9, v7, v6, v4
.LBB18_5:
	s_or_b32 exec_lo, exec_lo, s8
	v_and_b32_e32 v4, 7, v0
	v_lshlrev_b32_e32 v6, 2, v0
	v_cmp_eq_u32_e32 vcc_lo, 0, v4
	ds_write_b32 v6, v9
	s_and_b32 exec_lo, exec_lo, vcc_lo
	s_cbranch_execz .LBB18_7
; %bb.6:
	s_waitcnt lgkmcnt(1)
	v_add_f32_e32 v3, v3, v5
	ds_write_b64 v0, v[2:3] offset:128
.LBB18_7:
	s_or_b32 exec_lo, exec_lo, s25
	v_and_b32_e32 v11, 1, v0
	v_mov_b32_e32 v44, 0
	s_waitcnt lgkmcnt(0)
	s_barrier
	buffer_gl0_inv
	v_lshlrev_b32_e32 v43, 2, v11
	s_ashr_i32 s31, s30, 31
	s_ashr_i32 s1, s43, 31
	;; [unrolled: 1-line block ×3, first 2 shown]
	s_cmp_eq_u64 s[18:19], 0
	ds_read2_b32 v[14:15], v43 offset1:2
	ds_read2_b32 v[16:17], v43 offset0:4 offset1:6
	ds_read2_b32 v[18:19], v43 offset0:8 offset1:10
	;; [unrolled: 1-line block ×3, first 2 shown]
	ds_read_b128 v[2:5], v44 offset:128
	ds_read_b128 v[6:9], v44 offset:144
	ds_read2_b32 v[22:23], v43 offset0:16 offset1:18
	ds_read2_b32 v[24:25], v43 offset0:20 offset1:22
	;; [unrolled: 1-line block ×4, first 2 shown]
	s_waitcnt lgkmcnt(0)
	s_barrier
	buffer_gl0_inv
	s_cbranch_scc1 .LBB18_9
; %bb.8:
	s_load_dword s2, s[4:5], 0xd0
	s_mov_b32 s3, 0
	s_waitcnt lgkmcnt(0)
	s_mul_i32 s2, s2, s33
	s_add_i32 s2, s2, s6
	s_lshl_b64 s[2:3], s[2:3], 2
	s_add_u32 s2, s18, s2
	s_addc_u32 s3, s19, s3
	s_load_dword s34, s[2:3], 0x0
.LBB18_9:
	v_lshlrev_b32_e32 v10, 5, v1
	v_lshlrev_b32_e32 v42, 2, v0
	s_lshl_b32 s2, s7, 7
	s_mov_b32 s3, 0
	s_waitcnt lgkmcnt(0)
	s_cmp_ge_i32 s2, s34
	v_add_nc_u32_e32 v40, v10, v0
	v_lshlrev_b32_e32 v41, 1, v40
	s_cbranch_scc1 .LBB18_25
; %bb.10:
	s_clause 0x1
	s_load_dwordx4 s[24:27], s[4:5], 0x98
	s_load_dwordx2 s[18:19], s[4:5], 0x8c
	s_xor_b32 s43, s31, s1
	s_mul_i32 s1, s36, s42
	s_add_i32 s45, s36, 1
	s_sub_i32 s49, s35, s1
	s_mul_i32 s46, s38, s40
	s_sub_i32 s50, s49, s42
	s_mul_i32 s48, s39, s6
	s_clause 0x2
	s_load_dwordx2 s[38:39], s[4:5], 0xa8
	s_load_dwordx2 s[8:9], s[4:5], 0xc8
	s_load_dword s47, s[4:5], 0xd4
	v_and_b32_e32 v12, 0x7e, v0
	v_bfe_u32 v30, v0, 3, 27
	v_cmp_eq_u32_e64 s1, 0, v11
	v_and_b32_e32 v32, 28, v42
	v_add_nc_u32_e32 v55, 31, v10
	v_add_nc_u32_e32 v11, v10, v12
	v_mul_hi_u32_u24_e32 v13, 34, v30
	v_mul_u32_u24_e32 v12, 34, v30
	v_add_nc_u32_e32 v56, 28, v10
	v_add_nc_u32_e32 v59, 27, v10
	s_waitcnt lgkmcnt(0)
	s_mul_hi_u32 s35, s24, s33
	s_mul_i32 s51, s24, s44
	s_mul_i32 s25, s25, s33
	s_add_i32 s35, s35, s51
	v_mul_lo_u32 v33, v10, s26
	s_add_i32 s35, s35, s25
	s_cmp_ge_u32 s49, s42
	v_lshlrev_b32_e32 v31, 1, v11
	s_cselect_b32 s25, s45, s36
	s_cselect_b32 s36, s50, s49
	s_add_i32 s45, s25, 1
	s_cmp_ge_u32 s36, s42
	v_mad_u64_u32 v[35:36], null, s38, s33, v[12:13]
	s_cselect_b32 s25, s45, s25
	s_sub_i32 s45, s41, s46
	s_xor_b32 s25, s25, s43
	v_add_nc_u32_e32 v45, s26, v33
	s_sub_i32 s41, s25, s43
	s_sub_i32 s25, s45, s40
	s_mul_i32 s36, s41, s19
	s_mul_i32 s41, s41, s27
	s_ashr_i32 s27, s36, 31
	s_ashr_i32 s42, s41, 31
	s_cmp_ge_u32 s45, s40
	v_add_nc_u32_e32 v46, s26, v45
	s_cselect_b32 s19, s25, s45
	v_ashrrev_i32_e32 v37, 31, v33
	s_sub_i32 s25, s19, s40
	s_cmp_ge_u32 s19, s40
	v_add_nc_u32_e32 v47, s26, v46
	s_cselect_b32 s19, s25, s19
	s_ashr_i32 s45, s48, 31
	s_xor_b32 s19, s19, s44
	v_ashrrev_i32_e32 v48, 31, v45
	s_sub_i32 s19, s19, s44
	v_add_nc_u32_e32 v34, s26, v47
	s_ashr_i32 s25, s19, 31
	s_mul_hi_u32 s40, s8, s19
	s_mul_i32 s25, s8, s25
	s_mul_i32 s9, s9, s19
	s_add_i32 s25, s40, s25
	v_ashrrev_i32_e32 v49, 31, v46
	s_add_i32 s25, s25, s9
	s_cmp_lg_u64 s[14:15], 0
	s_mul_i32 s9, s8, s19
	s_cselect_b32 s19, -1, 0
	s_lshl_b32 s8, s47, 7
	s_add_u32 s40, s10, s36
	s_addc_u32 s43, s11, s27
	s_lshl_b64 s[46:47], s[2:3], 1
	v_mul_lo_u32 v55, s26, v55
	s_add_u32 s9, s9, s46
	s_addc_u32 s25, s25, s47
	s_add_u32 s14, s14, s48
	s_addc_u32 s15, s15, s45
	;; [unrolled: 2-line block ×3, first 2 shown]
	v_add_co_u32 v12, s9, s9, v31
	s_mul_i32 s15, s39, s33
	s_mul_i32 s25, s38, s44
	v_add_co_ci_u32_e64 v13, null, s14, 0, s9
	v_add3_u32 v36, s25, s15, v36
	v_add_co_u32 v30, vcc_lo, v12, 2
	v_add_co_ci_u32_e64 v31, null, 0, v13, vcc_lo
	v_add_co_u32 v44, vcc_lo, v35, v32
	v_add_co_ci_u32_e64 v51, null, 0, v36, vcc_lo
	;; [unrolled: 2-line block ×6, first 2 shown]
	v_add_nc_u32_e32 v51, s26, v34
	v_add_co_u32 v57, vcc_lo, v35, v45
	v_add_co_ci_u32_e64 v58, null, v36, v48, vcc_lo
	v_add_nc_u32_e32 v52, s26, v51
	v_add_co_u32 v61, vcc_lo, v37, v45
	v_add_co_ci_u32_e64 v62, null, v44, v48, vcc_lo
	v_add_co_u32 v65, vcc_lo, v35, v46
	v_add_co_ci_u32_e64 v66, null, v36, v49, vcc_lo
	v_add_co_u32 v67, vcc_lo, v37, v46
	v_add_nc_u32_e32 v46, 30, v10
	v_add_nc_u32_e32 v45, s26, v52
	v_add_co_ci_u32_e64 v68, null, v44, v49, vcc_lo
	v_add_nc_u32_e32 v49, 29, v10
	v_ashrrev_i32_e32 v50, 31, v47
	v_mul_lo_u32 v46, s26, v46
	v_add_nc_u32_e32 v48, s26, v45
	v_add_co_u32 v69, vcc_lo, v35, v47
	v_mul_lo_u32 v49, s26, v49
	v_ashrrev_i32_e32 v110, 31, v55
	v_add_co_ci_u32_e64 v70, null, v36, v50, vcc_lo
	v_add_co_u32 v71, vcc_lo, v37, v47
	v_add_nc_u32_e32 v53, s26, v48
	v_add_co_ci_u32_e64 v72, null, v44, v50, vcc_lo
	v_add_co_u32 v112, vcc_lo, v37, v55
	v_mul_lo_u32 v47, s26, v56
	v_ashrrev_i32_e32 v63, 31, v46
	v_add_co_ci_u32_e64 v113, null, v44, v110, vcc_lo
	v_add_co_u32 v114, vcc_lo, v35, v55
	v_add_nc_u32_e32 v54, s26, v53
	v_add_nc_u32_e32 v56, 26, v10
	v_add_co_ci_u32_e64 v110, null, v36, v110, vcc_lo
	v_add_co_u32 v115, vcc_lo, v37, v46
	v_mul_lo_u32 v50, s26, v59
	v_ashrrev_i32_e32 v64, 31, v49
	v_add_co_ci_u32_e64 v116, null, v44, v63, vcc_lo
	v_add_co_u32 v117, vcc_lo, v35, v46
	v_add_nc_u32_e32 v76, 25, v10
	v_add_co_ci_u32_e64 v118, null, v36, v63, vcc_lo
	v_add_co_u32 v119, vcc_lo, v37, v49
	v_add_nc_u32_e32 v60, s26, v54
	v_mul_lo_u32 v56, s26, v56
	v_ashrrev_i32_e32 v74, 31, v47
	v_add_co_ci_u32_e64 v120, null, v44, v64, vcc_lo
	v_add_co_u32 v121, vcc_lo, v35, v49
	v_add_nc_u32_e32 v77, 24, v10
	v_add_co_ci_u32_e64 v122, null, v36, v64, vcc_lo
	v_add_co_u32 v123, vcc_lo, v37, v47
	v_ashrrev_i32_e32 v75, 31, v50
	v_mul_lo_u32 v76, s26, v76
	v_add_nc_u32_e32 v59, s26, v60
	v_add_co_ci_u32_e64 v124, null, v44, v74, vcc_lo
	v_add_co_u32 v125, vcc_lo, v35, v47
	v_add_nc_u32_e32 v79, 23, v10
	v_add_co_ci_u32_e64 v126, null, v36, v74, vcc_lo
	v_add_co_u32 v127, vcc_lo, v37, v50
	v_ashrrev_i32_e32 v80, 31, v56
	v_mul_lo_u32 v77, s26, v77
	v_add_co_ci_u32_e64 v128, null, v44, v75, vcc_lo
	v_add_co_u32 v129, vcc_lo, v35, v50
	v_add_nc_u32_e32 v73, s26, v59
	v_add_nc_u32_e32 v82, 22, v10
	v_add_co_ci_u32_e64 v130, null, v36, v75, vcc_lo
	v_add_co_u32 v131, vcc_lo, v37, v56
	v_mul_lo_u32 v79, s26, v79
	v_ashrrev_i32_e32 v88, 31, v76
	v_add_co_ci_u32_e64 v132, null, v44, v80, vcc_lo
	v_add_co_u32 v133, vcc_lo, v35, v56
	v_add_nc_u32_e32 v78, s26, v73
	v_add_nc_u32_e32 v83, 21, v10
	v_add_co_ci_u32_e64 v134, null, v36, v80, vcc_lo
	v_add_co_u32 v135, vcc_lo, v37, v76
	v_mul_lo_u32 v82, s26, v82
	v_ashrrev_i32_e32 v89, 31, v77
	v_add_co_ci_u32_e64 v136, null, v44, v88, vcc_lo
	v_add_co_u32 v137, vcc_lo, v35, v76
	v_add_nc_u32_e32 v84, 20, v10
	v_add_co_ci_u32_e64 v138, null, v36, v88, vcc_lo
	v_add_co_u32 v139, vcc_lo, v37, v77
	v_add_nc_u32_e32 v81, s26, v78
	v_mul_lo_u32 v83, s26, v83
	v_ashrrev_i32_e32 v90, 31, v79
	v_add_co_ci_u32_e64 v140, null, v44, v89, vcc_lo
	v_add_co_u32 v141, vcc_lo, v35, v77
	v_add_nc_u32_e32 v86, 19, v10
	v_add_co_ci_u32_e64 v142, null, v36, v89, vcc_lo
	v_add_co_u32 v143, vcc_lo, v37, v79
	v_mul_lo_u32 v84, s26, v84
	v_ashrrev_i32_e32 v92, 31, v82
	v_add_nc_u32_e32 v85, s26, v81
	v_add_co_ci_u32_e64 v144, null, v44, v90, vcc_lo
	v_add_co_u32 v145, vcc_lo, v35, v79
	v_add_co_ci_u32_e64 v146, null, v36, v90, vcc_lo
	v_add_co_u32 v147, vcc_lo, v37, v82
	v_mul_lo_u32 v86, s26, v86
	v_ashrrev_i32_e32 v93, 31, v83
	v_add_co_ci_u32_e64 v148, null, v44, v92, vcc_lo
	v_add_co_u32 v149, vcc_lo, v35, v82
	v_add_nc_u32_e32 v87, s26, v85
	v_add_co_ci_u32_e64 v150, null, v36, v92, vcc_lo
	v_add_co_u32 v151, vcc_lo, v37, v83
	v_ashrrev_i32_e32 v94, 31, v84
	v_add_co_ci_u32_e64 v152, null, v44, v93, vcc_lo
	v_add_co_u32 v153, vcc_lo, v35, v83
	v_add_nc_u32_e32 v91, s26, v87
	v_add_co_ci_u32_e64 v154, null, v36, v93, vcc_lo
	v_add_co_u32 v155, vcc_lo, v37, v84
	v_ashrrev_i32_e32 v95, 31, v86
	v_add_co_ci_u32_e64 v156, null, v44, v94, vcc_lo
	v_add_co_u32 v157, vcc_lo, v35, v84
	v_add_co_ci_u32_e64 v158, null, v36, v94, vcc_lo
	v_add_co_u32 v159, vcc_lo, v37, v86
	v_ashrrev_i32_e32 v96, 31, v91
	v_add_co_ci_u32_e64 v160, null, v44, v95, vcc_lo
	v_add_co_u32 v161, vcc_lo, v35, v86
	;; [unrolled: 5-line block ×15, first 2 shown]
	v_and_b32_e32 v45, 30, v38
	v_add_co_ci_u32_e64 v214, null, v36, v108, vcc_lo
	v_add_co_u32 v215, vcc_lo, v37, v51
	v_ashrrev_i32_e32 v111, 31, v34
	v_add_co_ci_u32_e64 v216, null, v44, v109, vcc_lo
	v_add_co_u32 v217, vcc_lo, v35, v51
	v_add_nc_u32_e32 v45, 2, v45
	v_xor_b32_e32 v46, 1, v38
	v_add_co_ci_u32_e64 v218, null, v36, v109, vcc_lo
	v_add_co_u32 v37, vcc_lo, v37, v34
	v_add_co_ci_u32_e64 v44, null, v44, v111, vcc_lo
	v_add_co_u32 v34, vcc_lo, v35, v34
	v_add_co_ci_u32_e64 v35, null, v36, v111, vcc_lo
	v_cmp_lt_i32_e32 vcc_lo, v46, v45
	v_mul_lo_u32 v11, v11, s18
	v_xor_b32_e32 v47, 8, v38
	v_xor_b32_e32 v48, 16, v38
	s_mul_i32 s38, s24, s33
	v_cndmask_b32_e32 v36, v38, v46, vcc_lo
	v_xor_b32_e32 v46, 2, v38
	s_mov_b32 s9, s3
	v_add_co_u32 v60, s3, s38, v43
	v_lshlrev_b32_e32 v45, 2, v36
	v_xor_b32_e32 v36, 4, v38
	v_cmp_gt_i32_e32 vcc_lo, 32, v46
	v_add_nc_u32_e32 v59, s18, v11
	v_add_co_ci_u32_e64 v63, null, s35, 0, s3
	s_lshl_b64 s[14:15], s[8:9], 1
	v_cndmask_b32_e32 v46, v38, v46, vcc_lo
	v_cmp_gt_i32_e32 vcc_lo, 32, v36
	s_add_u32 s3, s12, s41
	s_addc_u32 s9, s13, s42
	s_mul_i32 s24, s26, s2
	v_lshlrev_b32_e32 v46, 2, v46
	v_cndmask_b32_e32 v36, v38, v36, vcc_lo
	v_cmp_gt_i32_e32 vcc_lo, 32, v47
	s_mul_i32 s25, s18, s2
	v_cndmask_b32_e32 v49, v38, v47, vcc_lo
	v_cmp_gt_i32_e32 vcc_lo, 32, v48
	v_lshlrev_b32_e32 v47, 2, v36
	v_ashrrev_i32_e32 v36, 31, v59
	v_cndmask_b32_e32 v50, v38, v48, vcc_lo
	v_add_co_u32 v51, vcc_lo, v60, v59
	v_add_co_ci_u32_e64 v52, null, v63, v36, vcc_lo
	v_lshlrev_b32_e32 v48, 2, v49
	v_add_co_u32 v51, vcc_lo, s40, v51
	v_add_co_ci_u32_e64 v52, null, s43, v52, vcc_lo
	v_add_co_u32 v53, vcc_lo, s3, v12
	v_add_co_ci_u32_e64 v54, null, s9, v13, vcc_lo
	;; [unrolled: 2-line block ×3, first 2 shown]
	v_add_co_u32 v57, vcc_lo, s12, v57
	v_lshlrev_b32_e32 v49, 2, v50
	v_lshlrev_b32_e32 v50, 1, v10
	v_add_co_ci_u32_e64 v58, null, s13, v58, vcc_lo
	v_add_co_u32 v10, vcc_lo, v60, s36
	s_add_u32 s3, s40, s38
	v_add_co_ci_u32_e64 v12, null, s27, v63, vcc_lo
	v_ashrrev_i32_e32 v13, 31, v11
	s_addc_u32 s9, s43, s35
	v_add_co_u32 v59, vcc_lo, s3, v59
	v_add_co_ci_u32_e64 v60, null, s9, v36, vcc_lo
	v_add_co_u32 v10, vcc_lo, v10, v11
	v_add_co_ci_u32_e64 v12, null, v12, v13, vcc_lo
	v_add_co_u32 v61, vcc_lo, s12, v61
	v_add_co_ci_u32_e64 v62, null, s13, v62, vcc_lo
	v_add_co_u32 v63, vcc_lo, s10, v10
	v_add_co_ci_u32_e64 v64, null, s11, v12, vcc_lo
	v_add_co_u32 v65, vcc_lo, s12, v65
	v_add_co_ci_u32_e64 v66, null, s13, v66, vcc_lo
	v_add_co_u32 v67, vcc_lo, s12, v67
	s_add_u32 s3, s38, s36
	s_addc_u32 s9, s35, s27
	v_add_co_ci_u32_e64 v68, null, s13, v68, vcc_lo
	v_add_co_u32 v69, vcc_lo, s12, v69
	s_add_u32 s3, s10, s3
	v_add_co_ci_u32_e64 v70, null, s13, v70, vcc_lo
	s_addc_u32 s9, s11, s9
	v_add_co_u32 v10, vcc_lo, s3, v11
	v_add_co_ci_u32_e64 v11, null, s9, v13, vcc_lo
	v_add_co_u32 v71, vcc_lo, s12, v71
	v_add_co_ci_u32_e64 v72, null, s13, v72, vcc_lo
	;; [unrolled: 2-line block ×59, first 2 shown]
	v_mov_b32_e32 v44, 0
	v_or_b32_e32 v187, 8, v43
	v_or_b32_e32 v188, 16, v43
	;; [unrolled: 1-line block ×3, first 2 shown]
	v_mov_b32_e32 v193, 0xfeffffff
	v_mov_b32_e32 v191, 0
	;; [unrolled: 1-line block ×4, first 2 shown]
	s_mul_i32 s3, s8, s18
	s_mul_i32 s9, s8, s26
	s_mov_b32 s10, 0xbbbac73d
.LBB18_11:                              ; =>This Inner Loop Header: Depth=1
	v_add_co_u32 v36, vcc_lo, v73, s25
	v_add_co_ci_u32_e64 v37, null, 0, v74, vcc_lo
	v_add_co_u32 v12, vcc_lo, v63, s25
	v_add_co_ci_u32_e64 v13, null, 0, v64, vcc_lo
	global_load_dwordx2 v[10:11], v[36:37], off offset:-76
	global_load_dword v194, v[12:13], off offset:8
	global_load_dwordx2 v[32:33], v[36:37], off offset:-52
	global_load_dword v195, v[12:13], off offset:32
	s_clause 0x1
	global_load_dwordx2 v[34:35], v[36:37], off offset:-28
	global_load_dwordx2 v[36:37], v[36:37], off offset:-4
	s_clause 0x5
	global_load_dword v197, v[12:13], off offset:88
	global_load_dword v198, v[12:13], off offset:64
	;; [unrolled: 1-line block ×6, first 2 shown]
	s_waitcnt vmcnt(11)
	v_ashrrev_i32_e32 v196, v43, v11
	v_ashrrev_i32_e32 v202, v187, v11
	s_waitcnt vmcnt(10)
	v_and_b32_e32 v201, 0xf0f0f0f, v194
	v_ashrrev_i32_e32 v205, v188, v11
	v_ashrrev_i32_e32 v206, v189, v11
	v_lshlrev_b32_e32 v203, 18, v196
	v_lshlrev_b32_e32 v204, 25, v196
	;; [unrolled: 1-line block ×4, first 2 shown]
	v_lshrrev_b32_e32 v194, 4, v194
	v_and_b32_e32 v11, 0x100000, v203
	v_and_b32_e32 v203, 0x10000000, v204
	v_lshlrev_b32_e32 v204, 4, v202
	v_lshlrev_b32_e32 v209, 18, v205
	v_and_b32_e32 v194, 0xf0f0f0f, v194
	s_waitcnt vmcnt(1)
	v_and_b32_e32 v216, 0xf0f0f0f, v215
	v_or3_b32 v201, v203, v201, v11
	v_lshlrev_b32_e32 v11, 25, v205
	v_and_b32_e32 v203, 16, v204
	v_and_b32_e32 v204, 0x100000, v207
	;; [unrolled: 1-line block ×5, first 2 shown]
	v_lshlrev_b32_e32 v209, 4, v206
	v_ashrrev_i32_e32 v13, v43, v37
	v_or3_b32 v203, v204, v207, v203
	v_lshlrev_b32_e32 v204, 18, v206
	v_lshlrev_b32_e32 v207, 25, v206
	v_or3_b32 v194, v11, v194, v208
	v_ashrrev_i32_e32 v208, v43, v33
	v_and_b32_e32 v11, 16, v209
	v_and_b32_e32 v204, 0x100000, v204
	v_and_b32_e32 v207, 0x10000000, v207
	s_waitcnt vmcnt(0)
	v_and_b32_e32 v221, 0xf0f0f0f, v12
	v_lshlrev_b32_e32 v209, 18, v208
	v_lshrrev_b32_e32 v12, 4, v12
	v_or3_b32 v204, v204, v207, v11
	v_lshlrev_b32_e32 v11, 25, v208
	v_and_b32_e32 v207, 0xf0f0f0f, v195
	v_and_b32_e32 v209, 0x100000, v209
	;; [unrolled: 1-line block ×4, first 2 shown]
	v_or3_b32 v207, v11, v207, v209
	v_ashrrev_i32_e32 v209, v187, v33
	v_lshlrev_b32_e32 v11, 4, v209
	v_lshlrev_b32_e32 v210, 18, v209
	;; [unrolled: 1-line block ×3, first 2 shown]
	v_and_b32_e32 v11, 16, v11
	v_and_b32_e32 v210, 0x100000, v210
	;; [unrolled: 1-line block ×3, first 2 shown]
	v_or3_b32 v210, v210, v211, v11
	v_lshrrev_b32_e32 v11, 4, v195
	v_ashrrev_i32_e32 v195, v188, v33
	v_ashrrev_i32_e32 v33, v189, v33
	v_and_b32_e32 v11, 0xf0f0f0f, v11
	v_lshlrev_b32_e32 v211, 18, v195
	v_lshlrev_b32_e32 v212, 25, v195
	;; [unrolled: 1-line block ×3, first 2 shown]
	v_and_b32_e32 v211, 0x100000, v211
	v_and_b32_e32 v212, 0x10000000, v212
	;; [unrolled: 1-line block ×3, first 2 shown]
	v_or3_b32 v211, v212, v11, v211
	v_lshlrev_b32_e32 v11, 4, v33
	v_lshlrev_b32_e32 v212, 18, v33
	;; [unrolled: 1-line block ×3, first 2 shown]
	v_and_b32_e32 v11, 16, v11
	v_and_b32_e32 v212, 0x100000, v212
	;; [unrolled: 1-line block ×3, first 2 shown]
	v_or3_b32 v212, v212, v213, v11
	v_ashrrev_i32_e32 v213, v43, v35
	v_lshlrev_b32_e32 v11, 18, v213
	v_lshlrev_b32_e32 v214, 25, v213
	v_and_b32_e32 v11, 0x100000, v11
	v_and_b32_e32 v214, 0x10000000, v214
	v_or3_b32 v214, v214, v216, v11
	v_ashrrev_i32_e32 v216, v187, v35
	v_lshlrev_b32_e32 v11, 4, v216
	v_lshlrev_b32_e32 v217, 18, v216
	;; [unrolled: 1-line block ×3, first 2 shown]
	v_and_b32_e32 v11, 16, v11
	v_and_b32_e32 v217, 0x100000, v217
	v_and_b32_e32 v218, 0x10000000, v218
	v_or3_b32 v217, v217, v218, v11
	v_lshrrev_b32_e32 v11, 4, v215
	v_ashrrev_i32_e32 v215, v188, v35
	v_ashrrev_i32_e32 v35, v189, v35
	v_and_b32_e32 v11, 0xf0f0f0f, v11
	v_lshlrev_b32_e32 v218, 18, v215
	v_lshlrev_b32_e32 v219, 25, v215
	;; [unrolled: 1-line block ×3, first 2 shown]
	v_and_b32_e32 v218, 0x100000, v218
	v_and_b32_e32 v219, 0x10000000, v219
	;; [unrolled: 1-line block ×3, first 2 shown]
	v_or3_b32 v218, v219, v11, v218
	v_lshlrev_b32_e32 v11, 4, v35
	v_lshlrev_b32_e32 v219, 18, v35
	;; [unrolled: 1-line block ×3, first 2 shown]
	v_and_b32_e32 v11, 16, v11
	v_and_b32_e32 v219, 0x100000, v219
	;; [unrolled: 1-line block ×3, first 2 shown]
	v_or3_b32 v219, v219, v220, v11
	v_lshlrev_b32_e32 v11, 18, v13
	v_lshlrev_b32_e32 v220, 25, v13
	v_and_b32_e32 v11, 0x100000, v11
	v_and_b32_e32 v220, 0x10000000, v220
	v_or3_b32 v220, v220, v221, v11
	v_ashrrev_i32_e32 v221, v187, v37
	v_lshlrev_b32_e32 v11, 4, v221
	v_lshlrev_b32_e32 v222, 18, v221
	;; [unrolled: 1-line block ×3, first 2 shown]
	v_and_b32_e32 v11, 16, v11
	v_and_b32_e32 v222, 0x100000, v222
	;; [unrolled: 1-line block ×3, first 2 shown]
	v_or3_b32 v11, v222, v223, v11
	v_ashrrev_i32_e32 v222, v188, v37
	v_ashrrev_i32_e32 v37, v189, v37
	v_lshlrev_b32_e32 v223, 18, v222
	v_lshlrev_b32_e32 v224, 25, v222
	v_and_b32_e32 v223, 0x100000, v223
	v_and_b32_e32 v224, 0x10000000, v224
	v_or3_b32 v12, v224, v12, v223
	v_lshlrev_b32_e32 v223, 4, v196
	v_lshlrev_b32_e32 v196, 11, v196
	v_and_b32_e32 v223, 16, v223
	v_and_b32_e32 v196, 0x1000, v196
	v_or3_b32 v196, v201, v223, v196
	v_lshlrev_b32_e32 v201, 11, v202
	v_and_b32_e32 v202, 0xf0f0f0f, v200
	v_lshrrev_b32_e32 v200, 4, v200
	v_and_b32_e32 v201, 0x1000, v201
	v_and_b32_e32 v200, 0xf0f0f0f, v200
	v_or3_b32 v201, v203, v201, v202
	v_lshlrev_b32_e32 v202, 4, v205
	v_lshlrev_b32_e32 v203, 11, v205
	v_and_b32_e32 v205, 0xf0f0f0f, v198
	v_lshrrev_b32_e32 v198, 4, v198
	v_and_b32_e32 v202, 16, v202
	v_and_b32_e32 v203, 0x1000, v203
	;; [unrolled: 1-line block ×3, first 2 shown]
	v_or3_b32 v194, v194, v202, v203
	v_lshlrev_b32_e32 v202, 11, v206
	v_lshlrev_b32_e32 v203, 11, v208
	;; [unrolled: 1-line block ×3, first 2 shown]
	v_or3_b32 v35, v219, v35, v198
	v_lshlrev_b32_e32 v198, 4, v13
	v_and_b32_e32 v202, 0x1000, v202
	v_and_b32_e32 v203, 0x1000, v203
	;; [unrolled: 1-line block ×3, first 2 shown]
	v_lshlrev_b32_e32 v13, 11, v13
	v_and_b32_e32 v198, 16, v198
	v_or3_b32 v200, v204, v202, v200
	v_lshlrev_b32_e32 v202, 4, v208
	v_and_b32_e32 v204, 0xf0f0f0f, v199
	v_lshrrev_b32_e32 v199, 4, v199
	v_and_b32_e32 v13, 0x1000, v13
	v_mov_b32_e32 v208, 0
	v_and_b32_e32 v202, 16, v202
	v_and_b32_e32 v199, 0xf0f0f0f, v199
	v_or3_b32 v13, v220, v198, v13
	v_cvt_f32_f16_e32 v198, v10
	v_or3_b32 v202, v207, v202, v203
	v_lshlrev_b32_e32 v203, 11, v209
	v_or3_b32 v33, v212, v33, v199
	v_lshlrev_b32_e32 v199, 4, v213
	v_cvt_f32_f16_sdwa v10, v10 dst_sel:DWORD dst_unused:UNUSED_PAD src0_sel:WORD_1
	v_mul_f32_e32 v198, v2, v198
	v_and_b32_e32 v203, 0x1000, v203
	v_mov_b32_e32 v207, 0
	v_and_b32_e32 v199, 16, v199
	v_mul_f32_e32 v10, v3, v10
	v_lshlrev_b32_e32 v209, 11, v221
	v_or3_b32 v203, v210, v203, v204
	v_lshlrev_b32_e32 v204, 4, v195
	v_lshlrev_b32_e32 v195, 11, v195
	v_mul_f32_e32 v10, 0x3e000000, v10
	v_lshlrev_b32_e32 v210, 11, v222
	v_and_b32_e32 v209, 0x1000, v209
	v_and_b32_e32 v204, 16, v204
	;; [unrolled: 1-line block ×4, first 2 shown]
	v_or3_b32 v195, v211, v204, v195
	v_lshlrev_b32_e32 v204, 11, v213
	v_dot4c_i32_i8 v207, v195, v20
	v_and_b32_e32 v204, 0x1000, v204
	v_mov_b32_e32 v195, 0
	v_cvt_f32_i32_e32 v207, v207
	v_or3_b32 v199, v214, v199, v204
	v_lshlrev_b32_e32 v204, 11, v216
	v_and_b32_e32 v204, 0x1000, v204
	v_or3_b32 v204, v217, v204, v205
	v_lshlrev_b32_e32 v205, 4, v215
	v_dot4c_i32_i8 v195, v204, v23
	v_and_b32_e32 v205, 16, v205
	v_lshlrev_b32_e32 v204, 4, v37
	v_cvt_f32_i32_e32 v195, v195
	v_or3_b32 v205, v218, v205, v206
	v_mov_b32_e32 v206, 0
	v_and_b32_e32 v204, 16, v204
	v_dot4c_i32_i8 v206, v196, v14
	v_mov_b32_e32 v196, 0
	v_dot4c_i32_i8 v196, v201, v15
	v_mov_b32_e32 v201, 0
	v_cvt_f32_i32_e32 v196, v196
	v_dot4c_i32_i8 v201, v194, v16
	v_mov_b32_e32 v194, 0
	v_fma_f32 v196, v198, v196, v10
	v_cvt_f32_i32_e32 v201, v201
	v_dot4c_i32_i8 v194, v200, v17
	v_cvt_f32_i32_e32 v200, v206
	v_mov_b32_e32 v206, 0
	v_fma_f32 v201, v198, v201, v10
	v_cvt_f32_i32_e32 v194, v194
	v_fma_f32 v200, v198, v200, v10
	v_dot4c_i32_i8 v206, v202, v18
	v_mov_b32_e32 v202, 0
	v_fmac_f32_e32 v10, v198, v194
	v_cvt_f32_f16_e32 v198, v32
	v_cvt_f32_f16_sdwa v32, v32 dst_sel:DWORD dst_unused:UNUSED_PAD src0_sel:WORD_1
	v_add_f32_e32 v200, 0, v200
	v_mov_b32_e32 v194, 0
	v_dot4c_i32_i8 v202, v33, v21
	v_mul_f32_e32 v198, v4, v198
	v_mul_f32_e32 v32, v5, v32
	v_add_f32_e32 v196, v200, v196
	v_dot4c_i32_i8 v194, v203, v19
	v_cvt_f32_i32_e32 v206, v206
	v_cvt_f32_i32_e32 v202, v202
	v_mul_f32_e32 v32, 0x3e000000, v32
	v_add_f32_e32 v196, v201, v196
	v_cvt_f32_i32_e32 v194, v194
	v_mov_b32_e32 v203, 0
	v_mov_b32_e32 v33, 0
	v_fma_f32 v206, v198, v206, v32
	v_add_f32_e32 v10, v196, v10
	v_fma_f32 v194, v198, v194, v32
	v_fma_f32 v207, v198, v207, v32
	v_fmac_f32_e32 v32, v198, v202
	v_cvt_f32_f16_e32 v202, v34
	v_cvt_f32_f16_sdwa v34, v34 dst_sel:DWORD dst_unused:UNUSED_PAD src0_sel:WORD_1
	v_add_f32_e32 v10, v10, v206
	v_dot4c_i32_i8 v203, v199, v22
	v_mov_b32_e32 v200, 0
	v_mul_f32_e32 v202, v6, v202
	v_mul_f32_e32 v34, v7, v34
	v_add_f32_e32 v10, v10, v194
	v_cvt_f32_i32_e32 v203, v203
	v_dot4c_i32_i8 v33, v205, v24
	v_mov_b32_e32 v198, 0
	v_mul_f32_e32 v34, 0x3e000000, v34
	v_add_f32_e32 v10, v207, v10
	v_cvt_f32_f16_e32 v196, v36
	v_cvt_f32_f16_sdwa v36, v36 dst_sel:DWORD dst_unused:UNUSED_PAD src0_sel:WORD_1
	v_and_b32_e32 v206, 0xf0f0f0f, v197
	v_fma_f32 v203, v202, v203, v34
	v_add_f32_e32 v10, v10, v32
	v_lshlrev_b32_e32 v194, 18, v37
	v_lshlrev_b32_e32 v205, 25, v37
	;; [unrolled: 1-line block ×3, first 2 shown]
	v_dot4c_i32_i8 v200, v35, v25
	v_cvt_f32_i32_e32 v33, v33
	v_fma_f32 v35, v202, v195, v34
	v_add_f32_e32 v10, v10, v203
	v_mov_b32_e32 v201, 0
	v_lshrrev_b32_e32 v197, 4, v197
	v_lshlrev_b32_e32 v37, 11, v37
	v_mul_f32_e32 v36, v9, v36
	v_and_b32_e32 v194, 0x100000, v194
	v_and_b32_e32 v205, 0x10000000, v205
	;; [unrolled: 1-line block ×3, first 2 shown]
	v_or3_b32 v11, v11, v209, v206
	v_dot4c_i32_i8 v198, v13, v26
	v_cvt_f32_i32_e32 v13, v200
	v_fma_f32 v33, v202, v33, v34
	v_add_f32_e32 v10, v10, v35
	v_and_b32_e32 v197, 0xf0f0f0f, v197
	v_mul_f32_e32 v196, v8, v196
	v_and_b32_e32 v37, 0x1000, v37
	v_mul_f32_e32 v32, 0x3e000000, v36
	v_or3_b32 v12, v12, v207, v210
	v_dot4c_i32_i8 v201, v11, v27
	v_cvt_f32_i32_e32 v11, v198
	v_fmac_f32_e32 v34, v202, v13
	v_add_f32_e32 v10, v33, v10
	v_or3_b32 v13, v194, v205, v204
	v_mov_b32_e32 v199, 0
	v_dot4c_i32_i8 v208, v12, v28
	v_cvt_f32_i32_e32 v12, v201
	v_fma_f32 v11, v196, v11, v32
	v_add_f32_e32 v10, v10, v34
	v_or3_b32 v13, v13, v37, v197
	v_cvt_f32_i32_e32 v33, v208
	v_fma_f32 v12, v196, v12, v32
	v_add_f32_e32 v10, v10, v11
	v_dot4c_i32_i8 v199, v13, v29
	v_fma_f32 v11, v196, v33, v32
	v_add_f32_e32 v10, v10, v12
	v_cvt_f32_i32_e32 v12, v199
	v_add_f32_e32 v10, v11, v10
	v_fmac_f32_e32 v32, v196, v12
	v_add_f32_e32 v10, v10, v32
	ds_bpermute_b32 v11, v45, v10
	s_waitcnt lgkmcnt(0)
	v_add_f32_e32 v10, v10, v11
                                        ; implicit-def: $vgpr11
	v_cmp_ngt_f32_e64 s11, 0x3f200000, |v10|
	s_and_saveexec_b32 s12, s11
	s_xor_b32 s11, exec_lo, s12
	s_cbranch_execz .LBB18_13
; %bb.12:                               ;   in Loop: Header=BB18_11 Depth=1
	v_add_f32_e64 v11, |v10|, |v10|
	v_mul_f32_e32 v12, 0x3fb8aa3b, v11
	v_cmp_ngt_f32_e32 vcc_lo, 0xc2ce8ed0, v11
	v_rndne_f32_e32 v13, v12
	v_fma_f32 v32, 0x3fb8aa3b, v11, -v12
	v_sub_f32_e32 v12, v12, v13
	v_fmac_f32_e32 v32, 0x32a5705f, v11
	v_cvt_i32_f32_e32 v13, v13
	v_add_f32_e32 v12, v12, v32
	v_exp_f32_e32 v12, v12
	v_ldexp_f32 v12, v12, v13
	v_cndmask_b32_e32 v12, 0, v12, vcc_lo
	v_cmp_nlt_f32_e32 vcc_lo, 0x42b17218, v11
	v_cndmask_b32_e32 v11, 0x7f800000, v12, vcc_lo
	v_add_f32_e32 v11, 1.0, v11
	v_rcp_f32_e32 v11, v11
	v_fma_f32 v11, v11, -2.0, 1.0
.LBB18_13:                              ;   in Loop: Header=BB18_11 Depth=1
	s_andn2_saveexec_b32 s11, s11
	s_cbranch_execz .LBB18_15
; %bb.14:                               ;   in Loop: Header=BB18_11 Depth=1
	v_mul_f32_e32 v11, v10, v10
	v_fmaak_f32 v12, s10, v11, 0x3ca908c9
	v_fmaak_f32 v12, v11, v12, 0xbd5c1c4e
	;; [unrolled: 1-line block ×4, first 2 shown]
	v_mul_f32_e64 v12, |v10|, v12
	v_fma_f32 v11, v11, v12, |v10|
.LBB18_15:                              ;   in Loop: Header=BB18_11 Depth=1
	s_or_b32 exec_lo, exec_lo, s11
	v_bfi_b32 v10, 0x7fffffff, v11, v10
	s_andn2_b32 vcc_lo, exec_lo, s19
	v_mul_f32_e32 v194, s37, v10
	s_cbranch_vccnz .LBB18_17
; %bb.16:                               ;   in Loop: Header=BB18_11 Depth=1
	global_load_ushort v10, v[30:31], off offset:-2
	s_waitcnt vmcnt(0)
	v_fma_mix_f32 v194, v39, v10, v194 op_sel_hi:[0,1,0]
.LBB18_17:                              ;   in Loop: Header=BB18_11 Depth=1
	v_add_co_u32 v36, vcc_lo, v59, s25
	v_add_co_ci_u32_e64 v37, null, 0, v60, vcc_lo
	v_add_co_u32 v12, vcc_lo, v51, s25
	v_add_co_ci_u32_e64 v13, null, 0, v52, vcc_lo
	global_load_dwordx2 v[10:11], v[36:37], off
	global_load_dword v195, v[12:13], off offset:8
	global_load_dwordx2 v[32:33], v[36:37], off offset:24
	global_load_dword v196, v[12:13], off offset:32
	s_clause 0x1
	global_load_dwordx2 v[34:35], v[36:37], off offset:48
	global_load_dwordx2 v[36:37], v[36:37], off offset:72
	s_clause 0x5
	global_load_dword v198, v[12:13], off offset:88
	global_load_dword v199, v[12:13], off offset:64
	;; [unrolled: 1-line block ×6, first 2 shown]
	s_waitcnt vmcnt(11)
	v_ashrrev_i32_e32 v197, v43, v11
	v_ashrrev_i32_e32 v203, v187, v11
	s_waitcnt vmcnt(10)
	v_and_b32_e32 v202, 0xf0f0f0f, v195
	v_ashrrev_i32_e32 v206, v188, v11
	v_lshrrev_b32_e32 v195, 4, v195
	v_lshlrev_b32_e32 v204, 18, v197
	v_lshlrev_b32_e32 v205, 25, v197
	;; [unrolled: 1-line block ×5, first 2 shown]
	v_and_b32_e32 v204, 0x100000, v204
	v_and_b32_e32 v205, 0x10000000, v205
	v_ashrrev_i32_e32 v11, v189, v11
	v_lshlrev_b32_e32 v210, 18, v206
	v_and_b32_e32 v195, 0xf0f0f0f, v195
	s_waitcnt vmcnt(1)
	v_and_b32_e32 v217, 0xf0f0f0f, v216
	v_or3_b32 v202, v205, v202, v204
	v_lshlrev_b32_e32 v204, 25, v206
	v_and_b32_e32 v205, 16, v207
	v_and_b32_e32 v207, 0x100000, v208
	;; [unrolled: 1-line block ×5, first 2 shown]
	v_lshlrev_b32_e32 v210, 4, v11
	v_lshrrev_b32_e32 v216, 4, v216
	v_or3_b32 v205, v207, v208, v205
	v_lshlrev_b32_e32 v207, 18, v11
	v_lshlrev_b32_e32 v208, 25, v11
	v_or3_b32 v195, v204, v195, v209
	v_ashrrev_i32_e32 v204, v43, v33
	v_and_b32_e32 v209, 16, v210
	v_and_b32_e32 v207, 0x100000, v207
	;; [unrolled: 1-line block ×4, first 2 shown]
	v_lshlrev_b32_e32 v210, 18, v204
	v_ashrrev_i32_e32 v13, v43, v37
	s_waitcnt vmcnt(0)
	v_and_b32_e32 v222, 0xf0f0f0f, v12
	v_or3_b32 v207, v207, v208, v209
	v_lshlrev_b32_e32 v208, 25, v204
	v_and_b32_e32 v209, 0xf0f0f0f, v196
	v_and_b32_e32 v210, 0x100000, v210
	v_lshrrev_b32_e32 v196, 4, v196
	v_lshrrev_b32_e32 v12, 4, v12
	v_and_b32_e32 v208, 0x10000000, v208
	v_lshlrev_b32_e32 v11, 11, v11
	v_and_b32_e32 v196, 0xf0f0f0f, v196
	v_and_b32_e32 v12, 0xf0f0f0f, v12
	v_or3_b32 v208, v208, v209, v210
	v_ashrrev_i32_e32 v209, v187, v33
	v_and_b32_e32 v11, 0x1000, v11
	v_lshlrev_b32_e32 v210, 4, v209
	v_lshlrev_b32_e32 v211, 18, v209
	;; [unrolled: 1-line block ×3, first 2 shown]
	v_and_b32_e32 v210, 16, v210
	v_and_b32_e32 v211, 0x100000, v211
	;; [unrolled: 1-line block ×3, first 2 shown]
	v_or3_b32 v210, v211, v212, v210
	v_ashrrev_i32_e32 v211, v188, v33
	v_ashrrev_i32_e32 v33, v189, v33
	v_lshlrev_b32_e32 v212, 18, v211
	v_lshlrev_b32_e32 v213, 25, v211
	;; [unrolled: 1-line block ×3, first 2 shown]
	v_and_b32_e32 v212, 0x100000, v212
	v_and_b32_e32 v213, 0x10000000, v213
	v_and_b32_e32 v214, 0x10000000, v214
	v_or3_b32 v196, v213, v196, v212
	v_lshlrev_b32_e32 v212, 4, v33
	v_lshlrev_b32_e32 v213, 18, v33
	v_lshlrev_b32_e32 v33, 11, v33
	v_and_b32_e32 v212, 16, v212
	v_and_b32_e32 v213, 0x100000, v213
	;; [unrolled: 1-line block ×3, first 2 shown]
	v_or3_b32 v212, v213, v214, v212
	v_ashrrev_i32_e32 v213, v43, v35
	v_lshlrev_b32_e32 v214, 18, v213
	v_lshlrev_b32_e32 v215, 25, v213
	v_and_b32_e32 v214, 0x100000, v214
	v_and_b32_e32 v215, 0x10000000, v215
	v_or3_b32 v214, v215, v217, v214
	v_ashrrev_i32_e32 v215, v187, v35
	v_lshlrev_b32_e32 v217, 4, v215
	v_lshlrev_b32_e32 v218, 18, v215
	;; [unrolled: 1-line block ×3, first 2 shown]
	v_and_b32_e32 v217, 16, v217
	v_and_b32_e32 v218, 0x100000, v218
	v_and_b32_e32 v219, 0x10000000, v219
	v_or3_b32 v217, v218, v219, v217
	v_ashrrev_i32_e32 v218, v188, v35
	v_ashrrev_i32_e32 v35, v189, v35
	v_lshlrev_b32_e32 v219, 18, v218
	v_lshlrev_b32_e32 v220, 25, v218
	;; [unrolled: 1-line block ×3, first 2 shown]
	v_and_b32_e32 v219, 0x100000, v219
	v_and_b32_e32 v220, 0x10000000, v220
	v_and_b32_e32 v221, 0x10000000, v221
	v_or3_b32 v216, v220, v216, v219
	v_lshlrev_b32_e32 v219, 4, v35
	v_lshlrev_b32_e32 v220, 18, v35
	;; [unrolled: 1-line block ×3, first 2 shown]
	v_and_b32_e32 v219, 16, v219
	v_and_b32_e32 v220, 0x100000, v220
	;; [unrolled: 1-line block ×3, first 2 shown]
	v_or3_b32 v219, v220, v221, v219
	v_lshlrev_b32_e32 v220, 18, v13
	v_lshlrev_b32_e32 v221, 25, v13
	v_and_b32_e32 v220, 0x100000, v220
	v_and_b32_e32 v221, 0x10000000, v221
	v_or3_b32 v220, v221, v222, v220
	v_ashrrev_i32_e32 v221, v187, v37
	v_lshlrev_b32_e32 v222, 4, v221
	v_lshlrev_b32_e32 v223, 18, v221
	;; [unrolled: 1-line block ×3, first 2 shown]
	v_and_b32_e32 v222, 16, v222
	v_and_b32_e32 v223, 0x100000, v223
	;; [unrolled: 1-line block ×3, first 2 shown]
	v_or3_b32 v222, v223, v224, v222
	v_ashrrev_i32_e32 v223, v188, v37
	v_lshlrev_b32_e32 v224, 18, v223
	v_lshlrev_b32_e32 v225, 25, v223
	v_and_b32_e32 v224, 0x100000, v224
	v_and_b32_e32 v225, 0x10000000, v225
	v_or3_b32 v12, v225, v12, v224
	v_lshlrev_b32_e32 v224, 4, v197
	v_lshlrev_b32_e32 v197, 11, v197
	v_and_b32_e32 v224, 16, v224
	v_and_b32_e32 v197, 0x1000, v197
	v_or3_b32 v197, v202, v224, v197
	v_lshlrev_b32_e32 v202, 11, v203
	v_and_b32_e32 v203, 0xf0f0f0f, v201
	v_lshrrev_b32_e32 v201, 4, v201
	v_and_b32_e32 v202, 0x1000, v202
	v_and_b32_e32 v201, 0xf0f0f0f, v201
	v_or3_b32 v202, v205, v202, v203
	v_lshlrev_b32_e32 v203, 4, v206
	v_lshlrev_b32_e32 v205, 11, v206
	v_or3_b32 v11, v207, v11, v201
	v_lshlrev_b32_e32 v201, 4, v204
	v_lshlrev_b32_e32 v206, 11, v218
	v_and_b32_e32 v203, 16, v203
	v_and_b32_e32 v205, 0x1000, v205
	v_mov_b32_e32 v207, 0
	v_and_b32_e32 v201, 16, v201
	v_and_b32_e32 v206, 0x1000, v206
	v_or3_b32 v195, v195, v203, v205
	v_lshlrev_b32_e32 v203, 11, v204
	v_and_b32_e32 v204, 0xf0f0f0f, v200
	v_lshlrev_b32_e32 v205, 11, v211
	v_lshrrev_b32_e32 v200, 4, v200
	v_and_b32_e32 v203, 0x1000, v203
	v_and_b32_e32 v205, 0x1000, v205
	;; [unrolled: 1-line block ×3, first 2 shown]
	v_or3_b32 v201, v208, v201, v203
	v_lshlrev_b32_e32 v203, 11, v209
	v_cvt_f32_f16_e32 v208, v36
	v_or3_b32 v33, v212, v33, v200
	v_lshlrev_b32_e32 v200, 4, v213
	v_lshlrev_b32_e32 v209, 11, v221
	v_and_b32_e32 v203, 0x1000, v203
	v_mul_f32_e32 v208, v8, v208
	v_and_b32_e32 v200, 16, v200
	v_and_b32_e32 v209, 0x1000, v209
	v_or3_b32 v203, v210, v203, v204
	v_lshlrev_b32_e32 v204, 4, v211
	v_lshlrev_b32_e32 v210, 11, v223
	v_and_b32_e32 v204, 16, v204
	v_and_b32_e32 v210, 0x1000, v210
	v_or3_b32 v196, v196, v204, v205
	v_lshlrev_b32_e32 v204, 11, v213
	v_and_b32_e32 v205, 0xf0f0f0f, v199
	v_lshrrev_b32_e32 v199, 4, v199
	v_dot4c_i32_i8 v207, v196, v20
	v_and_b32_e32 v204, 0x1000, v204
	v_mov_b32_e32 v196, 0
	v_and_b32_e32 v199, 0xf0f0f0f, v199
	v_cvt_f32_i32_e32 v207, v207
	v_or3_b32 v200, v214, v200, v204
	v_lshlrev_b32_e32 v204, 11, v215
	v_or3_b32 v35, v219, v35, v199
	v_lshlrev_b32_e32 v199, 4, v13
	v_lshlrev_b32_e32 v13, 11, v13
	v_and_b32_e32 v204, 0x1000, v204
	v_and_b32_e32 v199, 16, v199
	;; [unrolled: 1-line block ×3, first 2 shown]
	v_or3_b32 v204, v217, v204, v205
	v_lshlrev_b32_e32 v205, 4, v218
	v_or3_b32 v13, v220, v199, v13
	v_cvt_f32_f16_e32 v199, v10
	v_cvt_f32_f16_sdwa v10, v10 dst_sel:DWORD dst_unused:UNUSED_PAD src0_sel:WORD_1
	v_and_b32_e32 v205, 16, v205
	v_dot4c_i32_i8 v196, v204, v23
	v_mul_f32_e32 v199, v2, v199
	v_mul_f32_e32 v10, v3, v10
	v_or3_b32 v205, v216, v205, v206
	v_mov_b32_e32 v206, 0
	v_cvt_f32_i32_e32 v196, v196
	v_mul_f32_e32 v10, 0x3e000000, v10
	v_dot4c_i32_i8 v206, v197, v14
	v_mov_b32_e32 v197, 0
	v_dot4c_i32_i8 v197, v202, v15
	v_mov_b32_e32 v202, 0
	v_cvt_f32_i32_e32 v197, v197
	v_dot4c_i32_i8 v202, v195, v16
	v_mov_b32_e32 v195, 0
	v_fma_f32 v197, v199, v197, v10
	v_cvt_f32_i32_e32 v202, v202
	v_dot4c_i32_i8 v195, v11, v17
	v_cvt_f32_i32_e32 v11, v206
	v_mov_b32_e32 v206, 0
	v_fma_f32 v202, v199, v202, v10
	v_cvt_f32_i32_e32 v195, v195
	v_fma_f32 v11, v199, v11, v10
	v_dot4c_i32_i8 v206, v201, v18
	v_mov_b32_e32 v201, 0
	v_fmac_f32_e32 v10, v199, v195
	v_cvt_f32_f16_e32 v199, v32
	v_cvt_f32_f16_sdwa v32, v32 dst_sel:DWORD dst_unused:UNUSED_PAD src0_sel:WORD_1
	v_add_f32_e32 v11, 0, v11
	v_mov_b32_e32 v195, 0
	v_cvt_f32_i32_e32 v206, v206
	v_mul_f32_e32 v199, v4, v199
	v_mul_f32_e32 v32, v5, v32
	v_add_f32_e32 v11, v11, v197
	v_dot4c_i32_i8 v195, v203, v19
	v_mov_b32_e32 v203, 0
	v_dot4c_i32_i8 v201, v33, v21
	v_mul_f32_e32 v32, 0x3e000000, v32
	v_add_f32_e32 v11, v202, v11
	v_cvt_f32_i32_e32 v195, v195
	v_cvt_f32_f16_e32 v202, v34
	v_cvt_f32_f16_sdwa v34, v34 dst_sel:DWORD dst_unused:UNUSED_PAD src0_sel:WORD_1
	v_fma_f32 v206, v199, v206, v32
	v_add_f32_e32 v10, v11, v10
	v_fma_f32 v195, v199, v195, v32
	v_cvt_f32_i32_e32 v201, v201
	v_fma_f32 v207, v199, v207, v32
	v_dot4c_i32_i8 v203, v200, v22
	v_add_f32_e32 v10, v10, v206
	v_mul_f32_e32 v34, v7, v34
	v_mov_b32_e32 v33, 0
	v_fmac_f32_e32 v32, v199, v201
	v_mul_f32_e32 v202, v6, v202
	v_add_f32_e32 v10, v10, v195
	v_mul_f32_e32 v34, 0x3e000000, v34
	v_cvt_f32_i32_e32 v203, v203
	v_mov_b32_e32 v197, 0
	v_cvt_f32_f16_sdwa v11, v36 dst_sel:DWORD dst_unused:UNUSED_PAD src0_sel:WORD_1
	v_add_f32_e32 v10, v207, v10
	v_ashrrev_i32_e32 v36, v189, v37
	v_dot4c_i32_i8 v33, v205, v24
	v_fma_f32 v203, v202, v203, v34
	v_mov_b32_e32 v199, 0
	v_add_f32_e32 v10, v10, v32
	v_and_b32_e32 v206, 0xf0f0f0f, v198
	v_lshlrev_b32_e32 v195, 4, v223
	v_lshlrev_b32_e32 v204, 4, v36
	;; [unrolled: 1-line block ×5, first 2 shown]
	v_dot4c_i32_i8 v197, v35, v25
	v_cvt_f32_i32_e32 v33, v33
	v_fma_f32 v35, v202, v196, v34
	v_add_f32_e32 v10, v10, v203
	v_mov_b32_e32 v201, 0
	v_lshrrev_b32_e32 v198, 4, v198
	v_mul_f32_e32 v11, v9, v11
	v_and_b32_e32 v195, 16, v195
	v_and_b32_e32 v204, 16, v204
	;; [unrolled: 1-line block ×4, first 2 shown]
	v_or3_b32 v36, v222, v209, v206
	v_dot4c_i32_i8 v199, v13, v26
	v_cvt_f32_i32_e32 v13, v197
	v_fma_f32 v33, v202, v33, v34
	v_add_f32_e32 v10, v10, v35
	v_mov_b32_e32 v37, 0
	v_and_b32_e32 v198, 0xf0f0f0f, v198
	v_mul_f32_e32 v11, 0x3e000000, v11
	v_and_b32_e32 v205, 0x1000, v205
	v_or3_b32 v12, v12, v195, v210
	v_dot4c_i32_i8 v201, v36, v27
	v_cvt_f32_i32_e32 v35, v199
	v_fmac_f32_e32 v34, v202, v13
	v_add_f32_e32 v10, v33, v10
	v_or3_b32 v13, v207, v32, v204
	v_mov_b32_e32 v200, 0
	v_dot4c_i32_i8 v37, v12, v28
	v_cvt_f32_i32_e32 v12, v201
	v_fma_f32 v32, v208, v35, v11
	v_add_f32_e32 v10, v10, v34
	v_or3_b32 v13, v13, v205, v198
	v_cvt_f32_i32_e32 v33, v37
	v_fma_f32 v12, v208, v12, v11
	v_add_f32_e32 v10, v10, v32
	v_dot4c_i32_i8 v200, v13, v29
	v_fma_f32 v13, v208, v33, v11
	v_add_f32_e32 v10, v10, v12
	v_cvt_f32_i32_e32 v12, v200
	v_add_f32_e32 v10, v13, v10
	v_fmac_f32_e32 v11, v208, v12
	v_add_f32_e32 v10, v10, v11
	ds_bpermute_b32 v11, v45, v10
	s_waitcnt lgkmcnt(0)
	v_add_f32_e32 v10, v10, v11
                                        ; implicit-def: $vgpr11
	v_cmp_ngt_f32_e64 s11, 0x3f200000, |v10|
	s_and_saveexec_b32 s12, s11
	s_xor_b32 s11, exec_lo, s12
	s_cbranch_execz .LBB18_19
; %bb.18:                               ;   in Loop: Header=BB18_11 Depth=1
	v_add_f32_e64 v11, |v10|, |v10|
	v_mul_f32_e32 v12, 0x3fb8aa3b, v11
	v_cmp_ngt_f32_e32 vcc_lo, 0xc2ce8ed0, v11
	v_rndne_f32_e32 v13, v12
	v_fma_f32 v32, 0x3fb8aa3b, v11, -v12
	v_sub_f32_e32 v12, v12, v13
	v_fmac_f32_e32 v32, 0x32a5705f, v11
	v_cvt_i32_f32_e32 v13, v13
	v_add_f32_e32 v12, v12, v32
	v_exp_f32_e32 v12, v12
	v_ldexp_f32 v12, v12, v13
	v_cndmask_b32_e32 v12, 0, v12, vcc_lo
	v_cmp_nlt_f32_e32 vcc_lo, 0x42b17218, v11
	v_cndmask_b32_e32 v11, 0x7f800000, v12, vcc_lo
	v_add_f32_e32 v11, 1.0, v11
	v_rcp_f32_e32 v11, v11
	v_fma_f32 v11, v11, -2.0, 1.0
.LBB18_19:                              ;   in Loop: Header=BB18_11 Depth=1
	s_andn2_saveexec_b32 s11, s11
	s_cbranch_execz .LBB18_21
; %bb.20:                               ;   in Loop: Header=BB18_11 Depth=1
	v_mul_f32_e32 v11, v10, v10
	v_fmaak_f32 v12, s10, v11, 0x3ca908c9
	v_fmaak_f32 v12, v11, v12, 0xbd5c1c4e
	;; [unrolled: 1-line block ×4, first 2 shown]
	v_mul_f32_e64 v12, |v10|, v12
	v_fma_f32 v11, v11, v12, |v10|
.LBB18_21:                              ;   in Loop: Header=BB18_11 Depth=1
	s_or_b32 exec_lo, exec_lo, s11
	v_bfi_b32 v10, 0x7fffffff, v11, v10
	s_andn2_b32 vcc_lo, exec_lo, s19
	v_mul_f32_e32 v10, s37, v10
	s_cbranch_vccnz .LBB18_23
; %bb.22:                               ;   in Loop: Header=BB18_11 Depth=1
	global_load_ushort v11, v[30:31], off
	s_waitcnt vmcnt(0)
	v_fma_mix_f32 v10, v39, v11, v10 op_sel_hi:[0,1,0]
.LBB18_23:                              ;   in Loop: Header=BB18_11 Depth=1
	v_add_f32_e32 v11, 0x40051340, v194
	v_add_f32_e32 v12, 0x40051340, v10
	v_cndmask_b32_e64 v10, v10, v194, s1
	s_add_i32 s2, s2, s8
	s_cmp_ge_i32 s2, s34
	v_max3_f32 v11, v193, v11, v12
	ds_bpermute_b32 v12, v46, v11
	s_waitcnt lgkmcnt(0)
	v_max_f32_e32 v12, v12, v12
	v_max_f32_e32 v11, v11, v12
	ds_bpermute_b32 v12, v47, v11
	s_waitcnt lgkmcnt(0)
	v_max_f32_e32 v12, v12, v12
	v_max_f32_e32 v11, v11, v12
	;; [unrolled: 4-line block ×4, first 2 shown]
	v_sub_f32_e32 v10, v10, v32
	v_sub_f32_e32 v193, v193, v32
	v_mul_f32_e32 v11, 0x3fb8aa3b, v10
	v_cmp_ngt_f32_e32 vcc_lo, 0xc2ce8ed0, v10
	v_fma_f32 v12, 0x3fb8aa3b, v10, -v11
	v_rndne_f32_e32 v13, v11
	v_fmac_f32_e32 v12, 0x32a5705f, v10
	v_sub_f32_e32 v11, v11, v13
	v_add_f32_e32 v11, v11, v12
	v_cvt_i32_f32_e32 v12, v13
	v_exp_f32_e32 v11, v11
	v_ldexp_f32 v11, v11, v12
	v_cndmask_b32_e32 v11, 0, v11, vcc_lo
	v_cmp_nlt_f32_e32 vcc_lo, 0x42b17218, v10
	v_cndmask_b32_e32 v33, 0x7f800000, v11, vcc_lo
	v_cvt_f16_f32_e32 v10, v33
	ds_write_b16 v41, v10
	ds_read_b128 v[10:13], v50
	ds_read_b128 v[203:206], v50 offset:16
	s_waitcnt lgkmcnt(1)
	v_mul_u32_u24_sdwa v202, v10, v190 dst_sel:DWORD dst_unused:UNUSED_PAD src0_sel:WORD_0 src1_sel:DWORD
	v_mul_u32_u24_sdwa v200, v10, v190 dst_sel:DWORD dst_unused:UNUSED_PAD src0_sel:WORD_1 src1_sel:DWORD
	v_mul_u32_u24_sdwa v198, v11, v190 dst_sel:DWORD dst_unused:UNUSED_PAD src0_sel:WORD_0 src1_sel:DWORD
	v_mul_u32_u24_sdwa v196, v11, v190 dst_sel:DWORD dst_unused:UNUSED_PAD src0_sel:WORD_1 src1_sel:DWORD
	;; [unrolled: 2-line block ×4, first 2 shown]
	ds_read_b128 v[10:13], v50 offset:32
	ds_read_b128 v[215:218], v50 offset:48
	s_waitcnt lgkmcnt(2)
	v_mul_u32_u24_sdwa v36, v203, v190 dst_sel:DWORD dst_unused:UNUSED_PAD src0_sel:WORD_0 src1_sel:DWORD
	v_mul_u32_u24_sdwa v194, v203, v190 dst_sel:DWORD dst_unused:UNUSED_PAD src0_sel:WORD_1 src1_sel:DWORD
	v_mul_u32_u24_sdwa v197, v204, v190 dst_sel:DWORD dst_unused:UNUSED_PAD src0_sel:WORD_0 src1_sel:DWORD
	v_mul_u32_u24_sdwa v199, v204, v190 dst_sel:DWORD dst_unused:UNUSED_PAD src0_sel:WORD_1 src1_sel:DWORD
	v_mul_u32_u24_sdwa v201, v205, v190 dst_sel:DWORD dst_unused:UNUSED_PAD src0_sel:WORD_0 src1_sel:DWORD
	v_mul_u32_u24_sdwa v203, v205, v190 dst_sel:DWORD dst_unused:UNUSED_PAD src0_sel:WORD_1 src1_sel:DWORD
	v_mul_u32_u24_sdwa v204, v206, v190 dst_sel:DWORD dst_unused:UNUSED_PAD src0_sel:WORD_0 src1_sel:DWORD
	v_mul_u32_u24_sdwa v205, v206, v190 dst_sel:DWORD dst_unused:UNUSED_PAD src0_sel:WORD_1 src1_sel:DWORD
	s_waitcnt lgkmcnt(1)
	v_mul_u32_u24_sdwa v214, v10, v190 dst_sel:DWORD dst_unused:UNUSED_PAD src0_sel:WORD_0 src1_sel:DWORD
	v_mul_u32_u24_sdwa v212, v10, v190 dst_sel:DWORD dst_unused:UNUSED_PAD src0_sel:WORD_1 src1_sel:DWORD
	v_mul_u32_u24_sdwa v211, v11, v190 dst_sel:DWORD dst_unused:UNUSED_PAD src0_sel:WORD_0 src1_sel:DWORD
	v_mul_u32_u24_sdwa v209, v11, v190 dst_sel:DWORD dst_unused:UNUSED_PAD src0_sel:WORD_1 src1_sel:DWORD
	v_mul_u32_u24_sdwa v207, v12, v190 dst_sel:DWORD dst_unused:UNUSED_PAD src0_sel:WORD_0 src1_sel:DWORD
	v_mul_u32_u24_sdwa v206, v12, v190 dst_sel:DWORD dst_unused:UNUSED_PAD src0_sel:WORD_1 src1_sel:DWORD
	v_mul_u32_u24_sdwa v12, v13, v190 dst_sel:DWORD dst_unused:UNUSED_PAD src0_sel:WORD_0 src1_sel:DWORD
	v_mul_u32_u24_sdwa v11, v13, v190 dst_sel:DWORD dst_unused:UNUSED_PAD src0_sel:WORD_1 src1_sel:DWORD
	;; [unrolled: 9-line block ×3, first 2 shown]
	v_add_co_u32 v218, vcc_lo, v55, s24
	v_add_co_ci_u32_e64 v219, null, 0, v56, vcc_lo
	global_load_dword v220, v[218:219], off offset:2
	v_add_co_u32 v218, vcc_lo, v53, s24
	v_add_co_ci_u32_e64 v219, null, 0, v54, vcc_lo
	v_cmp_ngt_f32_e32 vcc_lo, 0xc2ce8ed0, v193
	global_load_ushort v218, v[218:219], off
	v_mul_f32_e32 v219, 0x3fb8aa3b, v193
	v_fma_f32 v221, 0x3fb8aa3b, v193, -v219
	v_rndne_f32_e32 v222, v219
	v_fmac_f32_e32 v221, 0x32a5705f, v193
	v_sub_f32_e32 v219, v219, v222
	v_add_f32_e32 v219, v219, v221
	v_cvt_i32_f32_e32 v221, v222
	v_exp_f32_e32 v219, v219
	v_ldexp_f32 v219, v219, v221
	v_cndmask_b32_e32 v219, 0, v219, vcc_lo
	v_cmp_nlt_f32_e32 vcc_lo, 0x42b17218, v193
	v_cndmask_b32_e32 v193, 0x7f800000, v219, vcc_lo
	v_fma_f32 v44, v44, v193, v33
	v_cvt_f16_f32_e32 v33, v193
	v_mul_u32_u24_sdwa v33, v33, v190 dst_sel:DWORD dst_unused:UNUSED_PAD src0_sel:WORD_0 src1_sel:DWORD
	v_pk_mul_f16 v192, v192, v33
	v_pk_mul_f16 v33, v191, v33
	s_waitcnt vmcnt(1)
	v_pk_lshrrev_b16 v191, 8, v220 op_sel:[1,0] op_sel_hi:[0,0]
	v_lshrrev_b32_e32 v193, 16, v191
	v_cvt_f16_i16_sdwa v191, sext(v191) dst_sel:DWORD dst_unused:UNUSED_PAD src0_sel:BYTE_0
	s_waitcnt vmcnt(0)
	v_mul_u32_u24_e32 v218, 0x10001, v218
	v_cvt_f16_i16_sdwa v193, sext(v193) dst_sel:DWORD dst_unused:UNUSED_PAD src0_sel:BYTE_0
	v_pack_b32_f16 v191, v191, v193
	v_pk_lshrrev_b16 v193, 8, v220 op_sel:[1,1] op_sel_hi:[0,1]
	v_pk_mul_f16 v191, v191, v218
	v_lshrrev_b32_e32 v219, 16, v193
	v_cvt_f16_i16_sdwa v193, sext(v193) dst_sel:DWORD dst_unused:UNUSED_PAD src0_sel:BYTE_0
	v_cvt_f16_i16_sdwa v219, sext(v219) dst_sel:DWORD dst_unused:UNUSED_PAD src0_sel:BYTE_0
	v_pack_b32_f16 v193, v193, v219
	v_pk_mul_f16 v193, v193, v218
	v_pk_fma_f16 v218, v191, v202, v192
	v_add_co_u32 v191, vcc_lo, v61, s24
	v_add_co_ci_u32_e64 v192, null, 0, v62, vcc_lo
	v_pk_fma_f16 v33, v193, v202, v33
	global_load_dword v193, v[191:192], off offset:2
	v_add_co_u32 v191, vcc_lo, v57, s24
	v_add_co_ci_u32_e64 v192, null, 0, v58, vcc_lo
	global_load_ushort v191, v[191:192], off
	s_waitcnt vmcnt(1)
	v_pk_lshrrev_b16 v192, 8, v193 op_sel:[1,0] op_sel_hi:[0,0]
	v_pk_lshrrev_b16 v193, 8, v193 op_sel:[1,1] op_sel_hi:[0,1]
	v_lshrrev_b32_e32 v202, 16, v192
	v_cvt_f16_i16_sdwa v192, sext(v192) dst_sel:DWORD dst_unused:UNUSED_PAD src0_sel:BYTE_0
	s_waitcnt vmcnt(0)
	v_mul_u32_u24_e32 v191, 0x10001, v191
	v_cvt_f16_i16_sdwa v202, sext(v202) dst_sel:DWORD dst_unused:UNUSED_PAD src0_sel:BYTE_0
	v_pack_b32_f16 v192, v192, v202
	v_lshrrev_b32_e32 v202, 16, v193
	v_cvt_f16_i16_sdwa v193, sext(v193) dst_sel:DWORD dst_unused:UNUSED_PAD src0_sel:BYTE_0
	v_pk_mul_f16 v192, v192, v191
	v_cvt_f16_i16_sdwa v202, sext(v202) dst_sel:DWORD dst_unused:UNUSED_PAD src0_sel:BYTE_0
	v_pack_b32_f16 v193, v193, v202
	v_pk_mul_f16 v191, v193, v191
	v_pk_fma_f16 v193, v192, v200, v218
	v_pk_fma_f16 v33, v191, v200, v33
	v_add_co_u32 v191, vcc_lo, v67, s24
	v_add_co_ci_u32_e64 v192, null, 0, v68, vcc_lo
	global_load_dword v200, v[191:192], off offset:2
	v_add_co_u32 v191, vcc_lo, v65, s24
	v_add_co_ci_u32_e64 v192, null, 0, v66, vcc_lo
	global_load_ushort v191, v[191:192], off
	s_waitcnt vmcnt(1)
	v_pk_lshrrev_b16 v192, 8, v200 op_sel:[1,0] op_sel_hi:[0,0]
	v_pk_lshrrev_b16 v200, 8, v200 op_sel:[1,1] op_sel_hi:[0,1]
	v_lshrrev_b32_e32 v202, 16, v192
	v_cvt_f16_i16_sdwa v192, sext(v192) dst_sel:DWORD dst_unused:UNUSED_PAD src0_sel:BYTE_0
	s_waitcnt vmcnt(0)
	v_mul_u32_u24_e32 v191, 0x10001, v191
	v_cvt_f16_i16_sdwa v202, sext(v202) dst_sel:DWORD dst_unused:UNUSED_PAD src0_sel:BYTE_0
	v_pack_b32_f16 v192, v192, v202
	v_lshrrev_b32_e32 v202, 16, v200
	v_cvt_f16_i16_sdwa v200, sext(v200) dst_sel:DWORD dst_unused:UNUSED_PAD src0_sel:BYTE_0
	v_pk_mul_f16 v192, v192, v191
	v_cvt_f16_i16_sdwa v202, sext(v202) dst_sel:DWORD dst_unused:UNUSED_PAD src0_sel:BYTE_0
	v_pk_fma_f16 v193, v192, v198, v193
	v_pack_b32_f16 v200, v200, v202
	v_pk_mul_f16 v191, v200, v191
	v_pk_fma_f16 v33, v191, v198, v33
	v_add_co_u32 v191, vcc_lo, v71, s24
	v_add_co_ci_u32_e64 v192, null, 0, v72, vcc_lo
	global_load_dword v198, v[191:192], off offset:2
	v_add_co_u32 v191, vcc_lo, v69, s24
	v_add_co_ci_u32_e64 v192, null, 0, v70, vcc_lo
	global_load_ushort v191, v[191:192], off
	s_waitcnt vmcnt(1)
	v_pk_lshrrev_b16 v192, 8, v198 op_sel:[1,0] op_sel_hi:[0,0]
	v_pk_lshrrev_b16 v198, 8, v198 op_sel:[1,1] op_sel_hi:[0,1]
	v_lshrrev_b32_e32 v200, 16, v192
	v_cvt_f16_i16_sdwa v192, sext(v192) dst_sel:DWORD dst_unused:UNUSED_PAD src0_sel:BYTE_0
	s_waitcnt vmcnt(0)
	v_mul_u32_u24_e32 v191, 0x10001, v191
	v_cvt_f16_i16_sdwa v200, sext(v200) dst_sel:DWORD dst_unused:UNUSED_PAD src0_sel:BYTE_0
	v_pack_b32_f16 v192, v192, v200
	v_lshrrev_b32_e32 v200, 16, v198
	v_cvt_f16_i16_sdwa v198, sext(v198) dst_sel:DWORD dst_unused:UNUSED_PAD src0_sel:BYTE_0
	v_pk_mul_f16 v192, v192, v191
	v_cvt_f16_i16_sdwa v200, sext(v200) dst_sel:DWORD dst_unused:UNUSED_PAD src0_sel:BYTE_0
	v_pk_fma_f16 v193, v192, v196, v193
	v_pack_b32_f16 v198, v198, v200
	v_pk_mul_f16 v191, v198, v191
	v_pk_fma_f16 v33, v191, v196, v33
	v_add_co_u32 v191, vcc_lo, v183, s24
	v_add_co_ci_u32_e64 v192, null, 0, v184, vcc_lo
	global_load_dword v196, v[191:192], off offset:2
	v_add_co_u32 v191, vcc_lo, v185, s24
	v_add_co_ci_u32_e64 v192, null, 0, v186, vcc_lo
	global_load_ushort v191, v[191:192], off
	s_waitcnt vmcnt(1)
	v_pk_lshrrev_b16 v192, 8, v196 op_sel:[1,0] op_sel_hi:[0,0]
	v_pk_lshrrev_b16 v196, 8, v196 op_sel:[1,1] op_sel_hi:[0,1]
	v_lshrrev_b32_e32 v198, 16, v192
	v_cvt_f16_i16_sdwa v192, sext(v192) dst_sel:DWORD dst_unused:UNUSED_PAD src0_sel:BYTE_0
	s_waitcnt vmcnt(0)
	v_mul_u32_u24_e32 v191, 0x10001, v191
	v_cvt_f16_i16_sdwa v198, sext(v198) dst_sel:DWORD dst_unused:UNUSED_PAD src0_sel:BYTE_0
	v_pack_b32_f16 v192, v192, v198
	v_lshrrev_b32_e32 v198, 16, v196
	v_cvt_f16_i16_sdwa v196, sext(v196) dst_sel:DWORD dst_unused:UNUSED_PAD src0_sel:BYTE_0
	v_pk_mul_f16 v192, v192, v191
	v_cvt_f16_i16_sdwa v198, sext(v198) dst_sel:DWORD dst_unused:UNUSED_PAD src0_sel:BYTE_0
	v_pk_fma_f16 v193, v192, v195, v193
	v_pack_b32_f16 v196, v196, v198
	v_pk_mul_f16 v191, v196, v191
	v_pk_fma_f16 v33, v191, v195, v33
	v_add_co_u32 v191, vcc_lo, v179, s24
	v_add_co_ci_u32_e64 v192, null, 0, v180, vcc_lo
	global_load_dword v195, v[191:192], off offset:2
	v_add_co_u32 v191, vcc_lo, v181, s24
	v_add_co_ci_u32_e64 v192, null, 0, v182, vcc_lo
	global_load_ushort v191, v[191:192], off
	s_waitcnt vmcnt(1)
	v_pk_lshrrev_b16 v192, 8, v195 op_sel:[1,0] op_sel_hi:[0,0]
	v_pk_lshrrev_b16 v195, 8, v195 op_sel:[1,1] op_sel_hi:[0,1]
	v_lshrrev_b32_e32 v196, 16, v192
	v_cvt_f16_i16_sdwa v192, sext(v192) dst_sel:DWORD dst_unused:UNUSED_PAD src0_sel:BYTE_0
	s_waitcnt vmcnt(0)
	v_mul_u32_u24_e32 v191, 0x10001, v191
	v_cvt_f16_i16_sdwa v196, sext(v196) dst_sel:DWORD dst_unused:UNUSED_PAD src0_sel:BYTE_0
	v_pack_b32_f16 v192, v192, v196
	v_lshrrev_b32_e32 v196, 16, v195
	v_cvt_f16_i16_sdwa v195, sext(v195) dst_sel:DWORD dst_unused:UNUSED_PAD src0_sel:BYTE_0
	v_pk_mul_f16 v192, v192, v191
	v_cvt_f16_i16_sdwa v196, sext(v196) dst_sel:DWORD dst_unused:UNUSED_PAD src0_sel:BYTE_0
	v_pk_fma_f16 v193, v192, v37, v193
	v_pack_b32_f16 v195, v195, v196
	v_pk_mul_f16 v191, v195, v191
	v_pk_fma_f16 v33, v191, v37, v33
	v_add_co_u32 v191, vcc_lo, v175, s24
	v_add_co_ci_u32_e64 v192, null, 0, v176, vcc_lo
	global_load_dword v37, v[191:192], off offset:2
	v_add_co_u32 v191, vcc_lo, v177, s24
	v_add_co_ci_u32_e64 v192, null, 0, v178, vcc_lo
	global_load_ushort v191, v[191:192], off
	s_waitcnt vmcnt(1)
	v_pk_lshrrev_b16 v192, 8, v37 op_sel:[1,0] op_sel_hi:[0,0]
	v_pk_lshrrev_b16 v37, 8, v37 op_sel:[1,1] op_sel_hi:[0,1]
	v_lshrrev_b32_e32 v195, 16, v192
	v_cvt_f16_i16_sdwa v192, sext(v192) dst_sel:DWORD dst_unused:UNUSED_PAD src0_sel:BYTE_0
	s_waitcnt vmcnt(0)
	v_mul_u32_u24_e32 v191, 0x10001, v191
	v_cvt_f16_i16_sdwa v195, sext(v195) dst_sel:DWORD dst_unused:UNUSED_PAD src0_sel:BYTE_0
	v_pack_b32_f16 v192, v192, v195
	v_lshrrev_b32_e32 v195, 16, v37
	v_cvt_f16_i16_sdwa v37, sext(v37) dst_sel:DWORD dst_unused:UNUSED_PAD src0_sel:BYTE_0
	v_pk_mul_f16 v192, v192, v191
	v_cvt_f16_i16_sdwa v195, sext(v195) dst_sel:DWORD dst_unused:UNUSED_PAD src0_sel:BYTE_0
	v_pk_fma_f16 v193, v192, v35, v193
	v_pack_b32_f16 v37, v37, v195
	v_pk_mul_f16 v37, v37, v191
	v_add_co_u32 v191, vcc_lo, v171, s24
	v_add_co_ci_u32_e64 v192, null, 0, v172, vcc_lo
	v_pk_fma_f16 v33, v37, v35, v33
	global_load_dword v35, v[191:192], off offset:2
	v_add_co_u32 v191, vcc_lo, v173, s24
	v_add_co_ci_u32_e64 v192, null, 0, v174, vcc_lo
	global_load_ushort v37, v[191:192], off
	s_waitcnt vmcnt(1)
	v_pk_lshrrev_b16 v191, 8, v35 op_sel:[1,0] op_sel_hi:[0,0]
	v_pk_lshrrev_b16 v35, 8, v35 op_sel:[1,1] op_sel_hi:[0,1]
	v_lshrrev_b32_e32 v192, 16, v191
	v_cvt_f16_i16_sdwa v191, sext(v191) dst_sel:DWORD dst_unused:UNUSED_PAD src0_sel:BYTE_0
	s_waitcnt vmcnt(0)
	v_mul_u32_u24_e32 v37, 0x10001, v37
	v_cvt_f16_i16_sdwa v192, sext(v192) dst_sel:DWORD dst_unused:UNUSED_PAD src0_sel:BYTE_0
	v_pack_b32_f16 v191, v191, v192
	v_lshrrev_b32_e32 v192, 16, v35
	v_cvt_f16_i16_sdwa v35, sext(v35) dst_sel:DWORD dst_unused:UNUSED_PAD src0_sel:BYTE_0
	v_pk_mul_f16 v191, v191, v37
	v_cvt_f16_i16_sdwa v192, sext(v192) dst_sel:DWORD dst_unused:UNUSED_PAD src0_sel:BYTE_0
	v_pack_b32_f16 v35, v35, v192
	v_pk_mul_f16 v35, v35, v37
	v_pk_fma_f16 v37, v191, v34, v193
	v_pk_fma_f16 v35, v35, v34, v33
	v_add_co_u32 v33, vcc_lo, v167, s24
	v_add_co_ci_u32_e64 v34, null, 0, v168, vcc_lo
	global_load_dword v191, v[33:34], off offset:2
	v_add_co_u32 v33, vcc_lo, v169, s24
	v_add_co_ci_u32_e64 v34, null, 0, v170, vcc_lo
	global_load_ushort v33, v[33:34], off
	s_waitcnt vmcnt(1)
	v_pk_lshrrev_b16 v34, 8, v191 op_sel:[1,0] op_sel_hi:[0,0]
	v_pk_lshrrev_b16 v191, 8, v191 op_sel:[1,1] op_sel_hi:[0,1]
	v_lshrrev_b32_e32 v192, 16, v34
	v_cvt_f16_i16_sdwa v34, sext(v34) dst_sel:DWORD dst_unused:UNUSED_PAD src0_sel:BYTE_0
	s_waitcnt vmcnt(0)
	v_mul_u32_u24_e32 v33, 0x10001, v33
	v_cvt_f16_i16_sdwa v192, sext(v192) dst_sel:DWORD dst_unused:UNUSED_PAD src0_sel:BYTE_0
	v_pack_b32_f16 v34, v34, v192
	v_lshrrev_b32_e32 v192, 16, v191
	v_cvt_f16_i16_sdwa v191, sext(v191) dst_sel:DWORD dst_unused:UNUSED_PAD src0_sel:BYTE_0
	v_pk_mul_f16 v34, v34, v33
	v_cvt_f16_i16_sdwa v192, sext(v192) dst_sel:DWORD dst_unused:UNUSED_PAD src0_sel:BYTE_0
	v_pk_fma_f16 v37, v34, v36, v37
	v_pack_b32_f16 v191, v191, v192
	v_pk_mul_f16 v33, v191, v33
	v_pk_fma_f16 v35, v33, v36, v35
	v_add_co_u32 v33, vcc_lo, v163, s24
	v_add_co_ci_u32_e64 v34, null, 0, v164, vcc_lo
	global_load_dword v36, v[33:34], off offset:2
	v_add_co_u32 v33, vcc_lo, v165, s24
	v_add_co_ci_u32_e64 v34, null, 0, v166, vcc_lo
	global_load_ushort v33, v[33:34], off
	s_waitcnt vmcnt(1)
	v_pk_lshrrev_b16 v34, 8, v36 op_sel:[1,0] op_sel_hi:[0,0]
	v_pk_lshrrev_b16 v36, 8, v36 op_sel:[1,1] op_sel_hi:[0,1]
	v_lshrrev_b32_e32 v191, 16, v34
	v_cvt_f16_i16_sdwa v34, sext(v34) dst_sel:DWORD dst_unused:UNUSED_PAD src0_sel:BYTE_0
	s_waitcnt vmcnt(0)
	v_mul_u32_u24_e32 v33, 0x10001, v33
	v_cvt_f16_i16_sdwa v191, sext(v191) dst_sel:DWORD dst_unused:UNUSED_PAD src0_sel:BYTE_0
	v_pack_b32_f16 v34, v34, v191
	v_lshrrev_b32_e32 v191, 16, v36
	v_cvt_f16_i16_sdwa v36, sext(v36) dst_sel:DWORD dst_unused:UNUSED_PAD src0_sel:BYTE_0
	v_pk_mul_f16 v34, v34, v33
	v_cvt_f16_i16_sdwa v191, sext(v191) dst_sel:DWORD dst_unused:UNUSED_PAD src0_sel:BYTE_0
	v_pack_b32_f16 v36, v36, v191
	v_pk_mul_f16 v33, v36, v33
	v_pk_fma_f16 v36, v34, v194, v37
	v_pk_fma_f16 v35, v33, v194, v35
	v_add_co_u32 v33, vcc_lo, v159, s24
	v_add_co_ci_u32_e64 v34, null, 0, v160, vcc_lo
	global_load_dword v37, v[33:34], off offset:2
	v_add_co_u32 v33, vcc_lo, v161, s24
	v_add_co_ci_u32_e64 v34, null, 0, v162, vcc_lo
	global_load_ushort v33, v[33:34], off
	s_waitcnt vmcnt(1)
	v_pk_lshrrev_b16 v34, 8, v37 op_sel:[1,0] op_sel_hi:[0,0]
	v_pk_lshrrev_b16 v37, 8, v37 op_sel:[1,1] op_sel_hi:[0,1]
	v_lshrrev_b32_e32 v191, 16, v34
	v_cvt_f16_i16_sdwa v34, sext(v34) dst_sel:DWORD dst_unused:UNUSED_PAD src0_sel:BYTE_0
	s_waitcnt vmcnt(0)
	v_mul_u32_u24_e32 v33, 0x10001, v33
	v_cvt_f16_i16_sdwa v191, sext(v191) dst_sel:DWORD dst_unused:UNUSED_PAD src0_sel:BYTE_0
	v_pack_b32_f16 v34, v34, v191
	v_lshrrev_b32_e32 v191, 16, v37
	v_cvt_f16_i16_sdwa v37, sext(v37) dst_sel:DWORD dst_unused:UNUSED_PAD src0_sel:BYTE_0
	v_pk_mul_f16 v34, v34, v33
	v_cvt_f16_i16_sdwa v191, sext(v191) dst_sel:DWORD dst_unused:UNUSED_PAD src0_sel:BYTE_0
	v_pk_fma_f16 v36, v34, v197, v36
	v_pack_b32_f16 v37, v37, v191
	v_pk_mul_f16 v33, v37, v33
	v_pk_fma_f16 v35, v33, v197, v35
	v_add_co_u32 v33, vcc_lo, v155, s24
	v_add_co_ci_u32_e64 v34, null, 0, v156, vcc_lo
	global_load_dword v37, v[33:34], off offset:2
	v_add_co_u32 v33, vcc_lo, v157, s24
	v_add_co_ci_u32_e64 v34, null, 0, v158, vcc_lo
	global_load_ushort v33, v[33:34], off
	s_waitcnt vmcnt(1)
	v_pk_lshrrev_b16 v34, 8, v37 op_sel:[1,0] op_sel_hi:[0,0]
	v_pk_lshrrev_b16 v37, 8, v37 op_sel:[1,1] op_sel_hi:[0,1]
	v_lshrrev_b32_e32 v191, 16, v34
	v_cvt_f16_i16_sdwa v34, sext(v34) dst_sel:DWORD dst_unused:UNUSED_PAD src0_sel:BYTE_0
	s_waitcnt vmcnt(0)
	v_mul_u32_u24_e32 v33, 0x10001, v33
	v_cvt_f16_i16_sdwa v191, sext(v191) dst_sel:DWORD dst_unused:UNUSED_PAD src0_sel:BYTE_0
	v_pack_b32_f16 v34, v34, v191
	v_lshrrev_b32_e32 v191, 16, v37
	v_cvt_f16_i16_sdwa v37, sext(v37) dst_sel:DWORD dst_unused:UNUSED_PAD src0_sel:BYTE_0
	v_pk_mul_f16 v34, v34, v33
	v_cvt_f16_i16_sdwa v191, sext(v191) dst_sel:DWORD dst_unused:UNUSED_PAD src0_sel:BYTE_0
	v_pk_fma_f16 v36, v34, v199, v36
	v_pack_b32_f16 v37, v37, v191
	v_pk_mul_f16 v33, v37, v33
	;; [unrolled: 23-line block ×15, first 2 shown]
	v_pk_fma_f16 v13, v11, v13, v33
	v_add_co_u32 v11, vcc_lo, v99, s24
	v_add_co_ci_u32_e64 v12, null, 0, v100, vcc_lo
	global_load_dword v33, v[11:12], off offset:2
	v_add_co_u32 v11, vcc_lo, v101, s24
	v_add_co_ci_u32_e64 v12, null, 0, v102, vcc_lo
	global_load_ushort v11, v[11:12], off
	s_waitcnt vmcnt(1)
	v_pk_lshrrev_b16 v12, 8, v33 op_sel:[1,0] op_sel_hi:[0,0]
	v_pk_lshrrev_b16 v33, 8, v33 op_sel:[1,1] op_sel_hi:[0,1]
	v_lshrrev_b32_e32 v35, 16, v12
	v_cvt_f16_i16_sdwa v12, sext(v12) dst_sel:DWORD dst_unused:UNUSED_PAD src0_sel:BYTE_0
	s_waitcnt vmcnt(0)
	v_mul_u32_u24_e32 v11, 0x10001, v11
	v_cvt_f16_i16_sdwa v35, sext(v35) dst_sel:DWORD dst_unused:UNUSED_PAD src0_sel:BYTE_0
	v_pack_b32_f16 v12, v12, v35
	v_lshrrev_b32_e32 v35, 16, v33
	v_cvt_f16_i16_sdwa v33, sext(v33) dst_sel:DWORD dst_unused:UNUSED_PAD src0_sel:BYTE_0
	v_pk_mul_f16 v12, v12, v11
	v_cvt_f16_i16_sdwa v35, sext(v35) dst_sel:DWORD dst_unused:UNUSED_PAD src0_sel:BYTE_0
	v_pack_b32_f16 v33, v33, v35
	v_pk_mul_f16 v11, v33, v11
	v_pk_fma_f16 v33, v12, v208, v34
	v_pk_fma_f16 v13, v11, v208, v13
	v_add_co_u32 v11, vcc_lo, v95, s24
	v_add_co_ci_u32_e64 v12, null, 0, v96, vcc_lo
	global_load_dword v34, v[11:12], off offset:2
	v_add_co_u32 v11, vcc_lo, v97, s24
	v_add_co_ci_u32_e64 v12, null, 0, v98, vcc_lo
	global_load_ushort v11, v[11:12], off
	s_waitcnt vmcnt(1)
	v_pk_lshrrev_b16 v12, 8, v34 op_sel:[1,0] op_sel_hi:[0,0]
	v_pk_lshrrev_b16 v34, 8, v34 op_sel:[1,1] op_sel_hi:[0,1]
	v_lshrrev_b32_e32 v35, 16, v12
	v_cvt_f16_i16_sdwa v12, sext(v12) dst_sel:DWORD dst_unused:UNUSED_PAD src0_sel:BYTE_0
	s_waitcnt vmcnt(0)
	v_mul_u32_u24_e32 v11, 0x10001, v11
	v_cvt_f16_i16_sdwa v35, sext(v35) dst_sel:DWORD dst_unused:UNUSED_PAD src0_sel:BYTE_0
	v_pack_b32_f16 v12, v12, v35
	v_lshrrev_b32_e32 v35, 16, v34
	v_cvt_f16_i16_sdwa v34, sext(v34) dst_sel:DWORD dst_unused:UNUSED_PAD src0_sel:BYTE_0
	v_pk_mul_f16 v12, v12, v11
	v_cvt_f16_i16_sdwa v35, sext(v35) dst_sel:DWORD dst_unused:UNUSED_PAD src0_sel:BYTE_0
	v_pk_fma_f16 v33, v12, v210, v33
	v_pack_b32_f16 v34, v34, v35
	v_pk_mul_f16 v11, v34, v11
	v_pk_fma_f16 v13, v11, v210, v13
	v_add_co_u32 v11, vcc_lo, v91, s24
	v_add_co_ci_u32_e64 v12, null, 0, v92, vcc_lo
	global_load_dword v34, v[11:12], off offset:2
	v_add_co_u32 v11, vcc_lo, v93, s24
	v_add_co_ci_u32_e64 v12, null, 0, v94, vcc_lo
	global_load_ushort v11, v[11:12], off
	s_waitcnt vmcnt(1)
	v_pk_lshrrev_b16 v12, 8, v34 op_sel:[1,0] op_sel_hi:[0,0]
	v_pk_lshrrev_b16 v34, 8, v34 op_sel:[1,1] op_sel_hi:[0,1]
	v_lshrrev_b32_e32 v35, 16, v12
	v_cvt_f16_i16_sdwa v12, sext(v12) dst_sel:DWORD dst_unused:UNUSED_PAD src0_sel:BYTE_0
	s_waitcnt vmcnt(0)
	v_mul_u32_u24_e32 v11, 0x10001, v11
	v_cvt_f16_i16_sdwa v35, sext(v35) dst_sel:DWORD dst_unused:UNUSED_PAD src0_sel:BYTE_0
	v_pack_b32_f16 v12, v12, v35
	v_lshrrev_b32_e32 v35, 16, v34
	v_cvt_f16_i16_sdwa v34, sext(v34) dst_sel:DWORD dst_unused:UNUSED_PAD src0_sel:BYTE_0
	v_pk_mul_f16 v12, v12, v11
	v_cvt_f16_i16_sdwa v35, sext(v35) dst_sel:DWORD dst_unused:UNUSED_PAD src0_sel:BYTE_0
	v_pk_fma_f16 v33, v12, v213, v33
	v_pack_b32_f16 v34, v34, v35
	v_pk_mul_f16 v11, v34, v11
	;; [unrolled: 23-line block ×5, first 2 shown]
	v_pk_fma_f16 v13, v11, v217, v13
	v_add_co_u32 v11, vcc_lo, v75, s24
	v_add_co_ci_u32_e64 v12, null, 0, v76, vcc_lo
	global_load_dword v34, v[11:12], off offset:2
	v_add_co_u32 v11, vcc_lo, v77, s24
	v_add_co_ci_u32_e64 v12, null, 0, v78, vcc_lo
	v_add_co_u32 v51, vcc_lo, v51, s3
	v_add_co_ci_u32_e64 v52, null, 0, v52, vcc_lo
	global_load_ushort v11, v[11:12], off
	v_add_co_u32 v30, vcc_lo, v30, s14
	v_add_co_ci_u32_e64 v31, null, s15, v31, vcc_lo
	v_add_co_u32 v53, vcc_lo, v53, s9
	v_add_co_ci_u32_e64 v54, null, 0, v54, vcc_lo
	;; [unrolled: 2-line block ×68, first 2 shown]
	s_waitcnt vmcnt(1)
	v_pk_lshrrev_b16 v12, 8, v34 op_sel:[1,0] op_sel_hi:[0,0]
	v_pk_lshrrev_b16 v34, 8, v34 op_sel:[1,1] op_sel_hi:[0,1]
	v_lshrrev_b32_e32 v35, 16, v12
	v_cvt_f16_i16_sdwa v12, sext(v12) dst_sel:DWORD dst_unused:UNUSED_PAD src0_sel:BYTE_0
	s_waitcnt vmcnt(0)
	v_mul_u32_u24_e32 v11, 0x10001, v11
	v_cvt_f16_i16_sdwa v35, sext(v35) dst_sel:DWORD dst_unused:UNUSED_PAD src0_sel:BYTE_0
	v_pack_b32_f16 v12, v12, v35
	v_lshrrev_b32_e32 v35, 16, v34
	v_cvt_f16_i16_sdwa v34, sext(v34) dst_sel:DWORD dst_unused:UNUSED_PAD src0_sel:BYTE_0
	v_pk_mul_f16 v12, v12, v11
	v_cvt_f16_i16_sdwa v35, sext(v35) dst_sel:DWORD dst_unused:UNUSED_PAD src0_sel:BYTE_0
	v_pk_fma_f16 v192, v12, v10, v33
	v_pack_b32_f16 v34, v34, v35
	v_pk_mul_f16 v11, v34, v11
	v_pk_fma_f16 v191, v11, v10, v13
	s_cbranch_scc1 .LBB18_26
; %bb.24:                               ;   in Loop: Header=BB18_11 Depth=1
	v_mov_b32_e32 v193, v32
	s_branch .LBB18_11
.LBB18_25:
	v_mov_b32_e32 v192, 0
	v_mov_b32_e32 v32, 0xfeffffff
	;; [unrolled: 1-line block ×3, first 2 shown]
.LBB18_26:
	v_or_b32_e32 v2, s7, v1
	s_cmp_lg_u64 s[16:17], 0
	s_cselect_b32 s1, -1, 0
	v_cmp_eq_u32_e32 vcc_lo, 0, v2
	s_and_b32 s2, vcc_lo, s1
	s_and_saveexec_b32 s1, s2
	s_cbranch_execz .LBB18_28
; %bb.27:
	s_lshl_b64 s[2:3], s[30:31], 2
	v_max_f32_e32 v2, v32, v32
	s_add_u32 s2, s16, s2
	s_addc_u32 s3, s17, s3
	s_load_dword s2, s[2:3], 0x0
	s_waitcnt lgkmcnt(0)
	v_max_f32_e64 v3, s2, s2
	v_max_f32_e32 v2, v2, v3
	v_sub_f32_e32 v3, v32, v2
	v_sub_f32_e32 v4, s2, v2
	v_mov_b32_e32 v32, v2
	v_mul_f32_e32 v5, 0x3fb8aa3b, v3
	v_mul_f32_e32 v6, 0x3fb8aa3b, v4
	v_cmp_ngt_f32_e32 vcc_lo, 0xc2ce8ed0, v3
	v_fma_f32 v7, 0x3fb8aa3b, v3, -v5
	v_rndne_f32_e32 v8, v5
	v_fma_f32 v9, 0x3fb8aa3b, v4, -v6
	v_rndne_f32_e32 v10, v6
	v_fmac_f32_e32 v7, 0x32a5705f, v3
	v_sub_f32_e32 v5, v5, v8
	v_fmac_f32_e32 v9, 0x32a5705f, v4
	v_sub_f32_e32 v6, v6, v10
	v_add_f32_e32 v5, v5, v7
	v_cvt_i32_f32_e32 v7, v8
	v_add_f32_e32 v6, v6, v9
	v_cvt_i32_f32_e32 v8, v10
	v_exp_f32_e32 v5, v5
	v_exp_f32_e32 v6, v6
	v_ldexp_f32 v5, v5, v7
	v_ldexp_f32 v6, v6, v8
	v_cndmask_b32_e32 v5, 0, v5, vcc_lo
	v_cmp_ngt_f32_e32 vcc_lo, 0xc2ce8ed0, v4
	v_cndmask_b32_e32 v6, 0, v6, vcc_lo
	v_cmp_nlt_f32_e32 vcc_lo, 0x42b17218, v3
	v_cndmask_b32_e32 v3, 0x7f800000, v5, vcc_lo
	v_cmp_nlt_f32_e32 vcc_lo, 0x42b17218, v4
	v_mov_b32_e32 v5, 0x10001
	v_cndmask_b32_e32 v4, 0x7f800000, v6, vcc_lo
	v_cmp_eq_u32_e32 vcc_lo, 0, v0
	v_cvt_f16_f32_e32 v6, v3
	v_cndmask_b32_e32 v4, 0, v4, vcc_lo
	v_mul_u32_u24_sdwa v5, v6, v5 dst_sel:DWORD dst_unused:UNUSED_PAD src0_sel:WORD_0 src1_sel:DWORD
	v_fmac_f32_e32 v4, v44, v3
	v_pk_mul_f16 v192, v192, v5
	v_pk_mul_f16 v191, v191, v5
	v_mov_b32_e32 v44, v4
.LBB18_28:
	s_or_b32 exec_lo, exec_lo, s1
	s_and_saveexec_b32 s1, s0
	s_cbranch_execz .LBB18_30
; %bb.29:
	v_mov_b32_e32 v2, 0xfeffffff
	v_mov_b32_e32 v3, 0
	v_add_nc_u32_e32 v4, 0x400, v42
	ds_write2_b32 v4, v2, v3 offset1:32
.LBB18_30:
	s_or_b32 exec_lo, exec_lo, s1
	v_cmp_eq_u32_e32 vcc_lo, 0, v0
	v_lshlrev_b32_e32 v4, 2, v1
	s_waitcnt lgkmcnt(0)
	s_barrier
	buffer_gl0_inv
	s_and_saveexec_b32 s0, vcc_lo
; %bb.31:
	ds_write_b32 v4, v32 offset:1024
; %bb.32:
	s_or_b32 exec_lo, exec_lo, s0
	s_waitcnt lgkmcnt(0)
	s_barrier
	buffer_gl0_inv
	ds_read_b32 v2, v42 offset:1024
	v_xor_b32_e32 v3, 16, v38
	v_xor_b32_e32 v6, 8, v38
	s_load_dword s1, s[4:5], 0xd4
	v_lshlrev_b32_e32 v0, 3, v0
	v_cmp_gt_i32_e64 s0, 32, v3
	v_lshl_add_u32 v0, v1, 8, v0
	v_cndmask_b32_e64 v3, v38, v3, s0
	v_cmp_gt_i32_e64 s0, 32, v6
	v_lshlrev_b32_e32 v3, 2, v3
	v_cndmask_b32_e64 v6, v38, v6, s0
	s_waitcnt lgkmcnt(0)
	ds_bpermute_b32 v5, v3, v2
	v_max_f32_e32 v2, v2, v2
	s_waitcnt lgkmcnt(0)
	v_max_f32_e32 v7, v5, v5
	v_lshlrev_b32_e32 v5, 2, v6
	v_max_f32_e32 v2, v2, v7
	v_xor_b32_e32 v7, 4, v38
	ds_bpermute_b32 v6, v5, v2
	v_cmp_gt_i32_e64 s0, 32, v7
	v_cndmask_b32_e64 v7, v38, v7, s0
	s_waitcnt lgkmcnt(0)
	v_max_f32_e32 v8, v6, v6
	v_lshlrev_b32_e32 v6, 2, v7
	v_max_f32_e32 v2, v2, v8
	v_xor_b32_e32 v8, 2, v38
	ds_bpermute_b32 v7, v6, v2
	v_cmp_gt_i32_e64 s0, 32, v8
	v_cndmask_b32_e64 v8, v38, v8, s0
	;; [unrolled: 8-line block ×3, first 2 shown]
	s_waitcnt lgkmcnt(0)
	v_max_f32_e32 v10, v8, v8
	v_lshlrev_b32_e32 v8, 2, v9
	v_max_f32_e32 v2, v2, v10
	ds_bpermute_b32 v9, v8, v2
	s_waitcnt lgkmcnt(0)
	v_max_f32_e32 v9, v9, v9
	v_max_f32_e32 v2, v2, v9
	v_sub_f32_e32 v9, v32, v2
	v_mul_f32_e32 v10, 0x3fb8aa3b, v9
	v_cmp_ngt_f32_e64 s0, 0xc2ce8ed0, v9
	v_fma_f32 v11, 0x3fb8aa3b, v9, -v10
	v_rndne_f32_e32 v12, v10
	v_fmamk_f32 v11, v9, 0x32a5705f, v11
	v_sub_f32_e32 v10, v10, v12
	v_add_f32_e32 v10, v10, v11
	v_cvt_i32_f32_e32 v11, v12
	v_mov_b32_e32 v12, 0x10001
	v_exp_f32_e32 v10, v10
	v_ldexp_f32 v10, v10, v11
	v_cndmask_b32_e64 v10, 0, v10, s0
	v_cmp_nlt_f32_e64 s0, 0x42b17218, v9
	v_cndmask_b32_e64 v11, 0x7f800000, v10, s0
	v_mul_f32_e32 v9, v44, v11
	ds_bpermute_b32 v9, v3, v9
	s_waitcnt lgkmcnt(0)
	v_fmac_f32_e32 v9, v44, v11
	v_cvt_f16_f32_e32 v11, v11
	ds_bpermute_b32 v10, v5, v9
	v_mul_u32_u24_sdwa v12, v11, v12 dst_sel:DWORD dst_unused:UNUSED_PAD src0_sel:WORD_0 src1_sel:DWORD
	v_pk_mul_f16 v11, v192, v12
	v_pk_mul_f16 v12, v191, v12
	ds_write_b64 v0, v[11:12]
	s_waitcnt lgkmcnt(1)
	v_add_f32_e32 v9, v9, v10
	ds_bpermute_b32 v10, v6, v9
	s_waitcnt lgkmcnt(0)
	v_add_f32_e32 v9, v9, v10
	ds_bpermute_b32 v10, v7, v9
	;; [unrolled: 3-line block ×3, first 2 shown]
	s_and_saveexec_b32 s0, vcc_lo
	s_cbranch_execz .LBB18_34
; %bb.33:
	s_waitcnt lgkmcnt(0)
	v_add_f32_e32 v0, v9, v10
	ds_write_b32 v4, v0 offset:1152
.LBB18_34:
	s_or_b32 exec_lo, exec_lo, s0
	s_waitcnt lgkmcnt(0)
	s_barrier
	buffer_gl0_inv
	ds_read_b32 v0, v42 offset:1152
	ds_read_u16 v1, v41 offset:768
	s_mul_i32 s0, s33, s28
	s_mov_b32 s3, 0
	s_add_i32 s0, s0, s6
	s_mul_i32 s0, s0, s29
	s_add_i32 s0, s0, s30
	s_mul_i32 s0, s1, s0
	s_add_i32 s2, s0, s7
	s_cmp_eq_u32 s1, 1
	s_waitcnt lgkmcnt(1)
	ds_bpermute_b32 v3, v3, v0
	s_waitcnt lgkmcnt(1)
	v_cvt_f32_f16_e32 v1, v1
	s_waitcnt lgkmcnt(0)
	v_add_f32_e32 v0, v0, v3
	ds_bpermute_b32 v3, v5, v0
	s_waitcnt lgkmcnt(0)
	v_add_f32_e32 v0, v0, v3
	ds_bpermute_b32 v3, v6, v0
	ds_read_u16 v4, v41
	ds_read_u16 v5, v41 offset:256
	ds_read_u16 v6, v41 offset:512
	s_waitcnt lgkmcnt(1)
	v_cvt_f32_f16_e32 v5, v5
	v_add_f32_e32 v0, v0, v3
	s_waitcnt lgkmcnt(0)
	v_cvt_f32_f16_e32 v6, v6
	ds_bpermute_b32 v3, v7, v0
	s_waitcnt lgkmcnt(0)
	v_add_f32_e32 v0, v0, v3
	v_cvt_f32_f16_e32 v3, v4
	ds_bpermute_b32 v4, v8, v0
	v_add_f32_e32 v3, 0, v3
	v_add_f32_e32 v3, v3, v5
	;; [unrolled: 1-line block ×4, first 2 shown]
	s_waitcnt lgkmcnt(0)
	v_add_f32_e32 v3, v0, v4
	v_div_scale_f32 v0, null, v3, v3, v6
	v_div_scale_f32 v5, vcc_lo, v6, v3, v6
	v_rcp_f32_e32 v4, v0
	v_fma_f32 v1, -v0, v4, 1.0
	v_fmac_f32_e32 v4, v1, v4
	v_mul_f32_e32 v7, v5, v4
	v_fma_f32 v1, -v0, v7, v5
	v_fmac_f32_e32 v7, v1, v4
	v_mov_b32_e32 v1, 0
	v_fma_f32 v5, -v0, v7, v5
	v_lshl_or_b32 v0, s2, 7, v40
	v_div_fmas_f32 v7, v5, v4, v7
	v_lshlrev_b64 v[4:5], 2, v[0:1]
	v_cmp_eq_u32_e32 vcc_lo, 0, v40
	v_div_fixup_f32 v0, v7, v3, v6
	v_add_co_u32 v4, s0, s20, v4
	v_add_co_ci_u32_e64 v5, null, s21, v5, s0
	s_cselect_b32 s0, -1, 0
	s_cmp_lg_u32 s1, 1
	v_cndmask_b32_e64 v0, v6, v0, s0
	s_cselect_b32 s0, -1, 0
	s_and_b32 s0, vcc_lo, s0
	global_store_dword v[4:5], v0, off
	s_and_saveexec_b32 s1, s0
	s_cbranch_execz .LBB18_36
; %bb.35:
	s_lshl_b64 s[0:1], s[2:3], 3
	s_add_u32 s0, s22, s0
	s_addc_u32 s1, s23, s1
	global_store_dwordx2 v1, v[2:3], s[0:1]
.LBB18_36:
	s_endpgm
	.section	.rodata,"a",@progbits
	.p2align	6, 0x0
	.amdhsa_kernel _ZL18flash_attn_ext_vecILi128ELi1EL9ggml_type7ELS0_8ELb1EEvPKcS2_S2_S2_S2_PKiPfP15HIP_vector_typeIfLj2EEffffjfiS6_IjLj3EEiiiiiiiiiiiliiliiiiil
		.amdhsa_group_segment_fixed_size 1280
		.amdhsa_private_segment_fixed_size 0
		.amdhsa_kernarg_size 464
		.amdhsa_user_sgpr_count 6
		.amdhsa_user_sgpr_private_segment_buffer 1
		.amdhsa_user_sgpr_dispatch_ptr 0
		.amdhsa_user_sgpr_queue_ptr 0
		.amdhsa_user_sgpr_kernarg_segment_ptr 1
		.amdhsa_user_sgpr_dispatch_id 0
		.amdhsa_user_sgpr_flat_scratch_init 0
		.amdhsa_user_sgpr_private_segment_size 0
		.amdhsa_wavefront_size32 1
		.amdhsa_uses_dynamic_stack 0
		.amdhsa_system_sgpr_private_segment_wavefront_offset 0
		.amdhsa_system_sgpr_workgroup_id_x 1
		.amdhsa_system_sgpr_workgroup_id_y 1
		.amdhsa_system_sgpr_workgroup_id_z 1
		.amdhsa_system_sgpr_workgroup_info 0
		.amdhsa_system_vgpr_workitem_id 1
		.amdhsa_next_free_vgpr 226
		.amdhsa_next_free_sgpr 52
		.amdhsa_reserve_vcc 1
		.amdhsa_reserve_flat_scratch 0
		.amdhsa_float_round_mode_32 0
		.amdhsa_float_round_mode_16_64 0
		.amdhsa_float_denorm_mode_32 3
		.amdhsa_float_denorm_mode_16_64 3
		.amdhsa_dx10_clamp 1
		.amdhsa_ieee_mode 1
		.amdhsa_fp16_overflow 0
		.amdhsa_workgroup_processor_mode 1
		.amdhsa_memory_ordered 1
		.amdhsa_forward_progress 1
		.amdhsa_shared_vgpr_count 0
		.amdhsa_exception_fp_ieee_invalid_op 0
		.amdhsa_exception_fp_denorm_src 0
		.amdhsa_exception_fp_ieee_div_zero 0
		.amdhsa_exception_fp_ieee_overflow 0
		.amdhsa_exception_fp_ieee_underflow 0
		.amdhsa_exception_fp_ieee_inexact 0
		.amdhsa_exception_int_div_zero 0
	.end_amdhsa_kernel
	.section	.text._ZL18flash_attn_ext_vecILi128ELi1EL9ggml_type7ELS0_8ELb1EEvPKcS2_S2_S2_S2_PKiPfP15HIP_vector_typeIfLj2EEffffjfiS6_IjLj3EEiiiiiiiiiiiliiliiiiil,"axG",@progbits,_ZL18flash_attn_ext_vecILi128ELi1EL9ggml_type7ELS0_8ELb1EEvPKcS2_S2_S2_S2_PKiPfP15HIP_vector_typeIfLj2EEffffjfiS6_IjLj3EEiiiiiiiiiiiliiliiiiil,comdat
.Lfunc_end18:
	.size	_ZL18flash_attn_ext_vecILi128ELi1EL9ggml_type7ELS0_8ELb1EEvPKcS2_S2_S2_S2_PKiPfP15HIP_vector_typeIfLj2EEffffjfiS6_IjLj3EEiiiiiiiiiiiliiliiiiil, .Lfunc_end18-_ZL18flash_attn_ext_vecILi128ELi1EL9ggml_type7ELS0_8ELb1EEvPKcS2_S2_S2_S2_PKiPfP15HIP_vector_typeIfLj2EEffffjfiS6_IjLj3EEiiiiiiiiiiiliiliiiiil
                                        ; -- End function
	.set _ZL18flash_attn_ext_vecILi128ELi1EL9ggml_type7ELS0_8ELb1EEvPKcS2_S2_S2_S2_PKiPfP15HIP_vector_typeIfLj2EEffffjfiS6_IjLj3EEiiiiiiiiiiiliiliiiiil.num_vgpr, 226
	.set _ZL18flash_attn_ext_vecILi128ELi1EL9ggml_type7ELS0_8ELb1EEvPKcS2_S2_S2_S2_PKiPfP15HIP_vector_typeIfLj2EEffffjfiS6_IjLj3EEiiiiiiiiiiiliiliiiiil.num_agpr, 0
	.set _ZL18flash_attn_ext_vecILi128ELi1EL9ggml_type7ELS0_8ELb1EEvPKcS2_S2_S2_S2_PKiPfP15HIP_vector_typeIfLj2EEffffjfiS6_IjLj3EEiiiiiiiiiiiliiliiiiil.numbered_sgpr, 52
	.set _ZL18flash_attn_ext_vecILi128ELi1EL9ggml_type7ELS0_8ELb1EEvPKcS2_S2_S2_S2_PKiPfP15HIP_vector_typeIfLj2EEffffjfiS6_IjLj3EEiiiiiiiiiiiliiliiiiil.num_named_barrier, 0
	.set _ZL18flash_attn_ext_vecILi128ELi1EL9ggml_type7ELS0_8ELb1EEvPKcS2_S2_S2_S2_PKiPfP15HIP_vector_typeIfLj2EEffffjfiS6_IjLj3EEiiiiiiiiiiiliiliiiiil.private_seg_size, 0
	.set _ZL18flash_attn_ext_vecILi128ELi1EL9ggml_type7ELS0_8ELb1EEvPKcS2_S2_S2_S2_PKiPfP15HIP_vector_typeIfLj2EEffffjfiS6_IjLj3EEiiiiiiiiiiiliiliiiiil.uses_vcc, 1
	.set _ZL18flash_attn_ext_vecILi128ELi1EL9ggml_type7ELS0_8ELb1EEvPKcS2_S2_S2_S2_PKiPfP15HIP_vector_typeIfLj2EEffffjfiS6_IjLj3EEiiiiiiiiiiiliiliiiiil.uses_flat_scratch, 0
	.set _ZL18flash_attn_ext_vecILi128ELi1EL9ggml_type7ELS0_8ELb1EEvPKcS2_S2_S2_S2_PKiPfP15HIP_vector_typeIfLj2EEffffjfiS6_IjLj3EEiiiiiiiiiiiliiliiiiil.has_dyn_sized_stack, 0
	.set _ZL18flash_attn_ext_vecILi128ELi1EL9ggml_type7ELS0_8ELb1EEvPKcS2_S2_S2_S2_PKiPfP15HIP_vector_typeIfLj2EEffffjfiS6_IjLj3EEiiiiiiiiiiiliiliiiiil.has_recursion, 0
	.set _ZL18flash_attn_ext_vecILi128ELi1EL9ggml_type7ELS0_8ELb1EEvPKcS2_S2_S2_S2_PKiPfP15HIP_vector_typeIfLj2EEffffjfiS6_IjLj3EEiiiiiiiiiiiliiliiiiil.has_indirect_call, 0
	.section	.AMDGPU.csdata,"",@progbits
; Kernel info:
; codeLenInByte = 18252
; TotalNumSgprs: 54
; NumVgprs: 226
; ScratchSize: 0
; MemoryBound: 0
; FloatMode: 240
; IeeeMode: 1
; LDSByteSize: 1280 bytes/workgroup (compile time only)
; SGPRBlocks: 0
; VGPRBlocks: 28
; NumSGPRsForWavesPerEU: 54
; NumVGPRsForWavesPerEU: 226
; Occupancy: 4
; WaveLimiterHint : 0
; COMPUTE_PGM_RSRC2:SCRATCH_EN: 0
; COMPUTE_PGM_RSRC2:USER_SGPR: 6
; COMPUTE_PGM_RSRC2:TRAP_HANDLER: 0
; COMPUTE_PGM_RSRC2:TGID_X_EN: 1
; COMPUTE_PGM_RSRC2:TGID_Y_EN: 1
; COMPUTE_PGM_RSRC2:TGID_Z_EN: 1
; COMPUTE_PGM_RSRC2:TIDIG_COMP_CNT: 1
	.section	.text._ZL18flash_attn_ext_vecILi128ELi2EL9ggml_type7ELS0_8ELb0EEvPKcS2_S2_S2_S2_PKiPfP15HIP_vector_typeIfLj2EEffffjfiS6_IjLj3EEiiiiiiiiiiiliiliiiiil,"axG",@progbits,_ZL18flash_attn_ext_vecILi128ELi2EL9ggml_type7ELS0_8ELb0EEvPKcS2_S2_S2_S2_PKiPfP15HIP_vector_typeIfLj2EEffffjfiS6_IjLj3EEiiiiiiiiiiiliiliiiiil,comdat
	.globl	_ZL18flash_attn_ext_vecILi128ELi2EL9ggml_type7ELS0_8ELb0EEvPKcS2_S2_S2_S2_PKiPfP15HIP_vector_typeIfLj2EEffffjfiS6_IjLj3EEiiiiiiiiiiiliiliiiiil ; -- Begin function _ZL18flash_attn_ext_vecILi128ELi2EL9ggml_type7ELS0_8ELb0EEvPKcS2_S2_S2_S2_PKiPfP15HIP_vector_typeIfLj2EEffffjfiS6_IjLj3EEiiiiiiiiiiiliiliiiiil
	.p2align	8
	.type	_ZL18flash_attn_ext_vecILi128ELi2EL9ggml_type7ELS0_8ELb0EEvPKcS2_S2_S2_S2_PKiPfP15HIP_vector_typeIfLj2EEffffjfiS6_IjLj3EEiiiiiiiiiiiliiliiiiil,@function
_ZL18flash_attn_ext_vecILi128ELi2EL9ggml_type7ELS0_8ELb0EEvPKcS2_S2_S2_S2_PKiPfP15HIP_vector_typeIfLj2EEffffjfiS6_IjLj3EEiiiiiiiiiiiliiliiiiil: ; @_ZL18flash_attn_ext_vecILi128ELi2EL9ggml_type7ELS0_8ELb0EEvPKcS2_S2_S2_S2_PKiPfP15HIP_vector_typeIfLj2EEffffjfiS6_IjLj3EEiiiiiiiiiiiliiliiiiil
; %bb.0:
	s_clause 0x2
	s_load_dwordx2 s[36:37], s[6:7], 0x64
	s_load_dwordx2 s[40:41], s[6:7], 0x80
	;; [unrolled: 1-line block ×3, first 2 shown]
	s_mov_b32 s34, s9
	s_load_dwordx4 s[28:31], s[6:7], 0x40
	v_mov_b32_e32 v77, 1.0
	s_waitcnt lgkmcnt(0)
	v_cvt_f32_u32_e32 v3, s37
	s_sub_i32 s1, 0, s37
	v_rcp_iflag_f32_e32 v3, v3
	v_mul_f32_e32 v3, 0x4f7ffffe, v3
	v_cvt_u32_f32_e32 v3, v3
	v_readfirstlane_b32 s0, v3
	s_mul_i32 s1, s1, s0
	s_mul_hi_u32 s1, s0, s1
	s_add_i32 s0, s0, s1
	s_mul_hi_u32 s0, s10, s0
	s_mul_i32 s1, s0, s37
	s_add_i32 s2, s0, 1
	s_sub_i32 s1, s10, s1
	s_sub_i32 s3, s1, s37
	s_cmp_ge_u32 s1, s37
	s_cselect_b32 s0, s2, s0
	s_cselect_b32 s1, s3, s1
	s_add_i32 s2, s0, 1
	s_cmp_ge_u32 s1, s37
	s_cselect_b32 s33, s2, s0
	s_abs_i32 s0, s41
	s_abs_i32 s9, s37
	v_cvt_f32_u32_e32 v3, s0
	s_sub_i32 s2, 0, s0
	s_xor_b32 s3, s37, s41
	s_ashr_i32 s3, s3, 31
	v_rcp_iflag_f32_e32 v3, v3
	v_mul_f32_e32 v3, 0x4f7ffffe, v3
	v_cvt_u32_f32_e32 v3, v3
	v_readfirstlane_b32 s1, v3
	s_mul_i32 s2, s2, s1
	s_mul_hi_u32 s2, s1, s2
	s_add_i32 s1, s1, s2
	s_mul_i32 s2, s33, s37
	s_mul_hi_u32 s1, s9, s1
	s_sub_i32 s38, s10, s2
	s_mul_i32 s11, s1, s0
	s_sub_i32 s2, s9, s11
	s_add_i32 s9, s1, 1
	s_sub_i32 s10, s2, s0
	s_cmp_ge_u32 s2, s0
	s_cselect_b32 s1, s9, s1
	s_cselect_b32 s2, s10, s2
	s_add_i32 s9, s1, 1
	s_cmp_ge_u32 s2, s0
	s_cselect_b32 s0, s9, s1
	s_abs_i32 s35, s42
	s_xor_b32 s0, s0, s3
	v_cvt_f32_u32_e32 v3, s35
	s_sub_i32 s41, s0, s3
	s_load_dword s0, s[6:7], 0x50
	s_abs_i32 s39, s41
	v_cmp_le_f32_e64 s1, s29, 0
	v_cvt_f32_u32_e32 v4, s39
	v_rcp_iflag_f32_e32 v3, v3
	s_and_b32 vcc_lo, exec_lo, s1
	v_rcp_iflag_f32_e32 v4, v4
	v_mul_f32_e32 v3, 0x4f7ffffe, v3
	v_mul_f32_e32 v4, 0x4f7ffffe, v4
	v_cvt_u32_f32_e32 v3, v3
	v_cvt_u32_f32_e32 v4, v4
	v_readfirstlane_b32 s29, v3
	v_readfirstlane_b32 s42, v4
	s_cbranch_vccnz .LBB19_2
; %bb.1:
	s_waitcnt lgkmcnt(0)
	v_sub_co_u32 v4, vcc_lo, s38, s0
	v_mov_b32_e32 v3, s30
	s_add_i32 s0, s38, 1
	v_lshlrev_b32_e32 v4, 1, v4
	v_cndmask_b32_e32 v3, s31, v3, vcc_lo
	v_or_b32_e32 v4, 1, v4
	v_cndmask_b32_e64 v4, v4, s0, vcc_lo
	v_cmp_neq_f32_e32 vcc_lo, 1.0, v3
	s_mov_b32 s0, 0x3e76c4e1
	v_cvt_f32_i32_e32 v4, v4
	v_cndmask_b32_e32 v5, 1.0, v4, vcc_lo
	v_cmp_neq_f32_e32 vcc_lo, 0, v5
	v_cndmask_b32_e32 v6, 1.0, v3, vcc_lo
	v_frexp_mant_f32_e64 v3, |v6|
	v_cmp_eq_f32_e64 s2, 0, v6
	v_cmp_gt_f32_e32 vcc_lo, 0x3f2aaaab, v3
	v_cndmask_b32_e64 v4, 1.0, 2.0, vcc_lo
	v_mul_f32_e32 v3, v3, v4
	v_add_f32_e32 v4, 1.0, v3
	v_add_f32_e32 v8, -1.0, v3
	v_rcp_f32_e32 v7, v4
	v_add_f32_e32 v10, -1.0, v4
	v_sub_f32_e32 v3, v3, v10
	v_mul_f32_e32 v9, v8, v7
	v_mul_f32_e32 v11, v4, v9
	v_fma_f32 v4, v9, v4, -v11
	v_fmac_f32_e32 v4, v9, v3
	v_add_f32_e32 v3, v11, v4
	v_sub_f32_e32 v10, v8, v3
	v_sub_f32_e32 v11, v3, v11
	v_sub_f32_e32 v8, v8, v10
	v_sub_f32_e32 v4, v11, v4
	v_sub_f32_e32 v3, v8, v3
	v_add_f32_e32 v3, v4, v3
	v_add_f32_e32 v3, v10, v3
	v_mul_f32_e32 v3, v7, v3
	v_add_f32_e32 v7, v9, v3
	v_sub_f32_e32 v4, v7, v9
	v_mul_f32_e32 v8, v7, v7
	v_sub_f32_e32 v9, v3, v4
	v_fma_f32 v3, v7, v7, -v8
	v_add_f32_e32 v4, v9, v9
	v_fmac_f32_e32 v3, v7, v4
	v_add_f32_e32 v10, v8, v3
	v_fmaak_f32 v4, s0, v10, 0x3e91f4c4
	v_sub_f32_e32 v8, v10, v8
	v_mul_f32_e32 v15, v7, v10
	v_fmaak_f32 v4, v10, v4, 0x3ecccdef
	v_sub_f32_e32 v8, v3, v8
	v_fma_f32 v16, v10, v7, -v15
	v_mul_f32_e32 v11, v10, v4
	v_fmac_f32_e32 v16, v10, v9
	v_ldexp_f32 v9, v9, 1
	v_fma_f32 v12, v10, v4, -v11
	v_fmac_f32_e32 v16, v8, v7
	v_fmac_f32_e32 v12, v8, v4
	v_cvt_f64_f32_e64 v[3:4], |v6|
	v_add_f32_e32 v13, v11, v12
	v_sub_f32_e32 v11, v13, v11
	v_add_f32_e32 v14, 0x3f2aaaaa, v13
	v_sub_f32_e32 v11, v12, v11
	v_add_f32_e32 v12, 0xbf2aaaaa, v14
	v_add_f32_e32 v11, 0x31739010, v11
	v_sub_f32_e32 v12, v13, v12
	v_frexp_exp_i32_f64_e32 v3, v[3:4]
	v_add_f32_e32 v10, v11, v12
	v_add_f32_e32 v11, v15, v16
	;; [unrolled: 1-line block ×3, first 2 shown]
	v_sub_f32_e32 v13, v11, v15
	v_sub_f32_e32 v4, v14, v8
	v_mul_f32_e32 v12, v11, v8
	v_sub_f32_e32 v13, v16, v13
	v_add_f32_e32 v4, v10, v4
	v_fma_f32 v10, v11, v8, -v12
	v_subrev_co_ci_u32_e64 v3, null, 0, v3, vcc_lo
	v_fmac_f32_e32 v10, v11, v4
	v_ldexp_f32 v4, v7, 1
	v_cvt_f32_i32_e32 v3, v3
	v_fmac_f32_e32 v10, v13, v8
	v_add_f32_e32 v7, v12, v10
	v_add_f32_e32 v8, v4, v7
	v_sub_f32_e32 v11, v7, v12
	v_mul_f32_e32 v12, 0x3f317218, v3
	v_sub_f32_e32 v4, v8, v4
	v_sub_f32_e32 v10, v10, v11
	v_fma_f32 v11, 0x3f317218, v3, -v12
	v_sub_f32_e32 v4, v7, v4
	v_add_f32_e32 v7, v9, v10
	v_fmamk_f32 v3, v3, 0xb102e308, v11
	v_add_f32_e32 v4, v7, v4
	v_add_f32_e32 v7, v12, v3
	;; [unrolled: 1-line block ×3, first 2 shown]
	v_sub_f32_e32 v12, v7, v12
	v_add_f32_e32 v10, v7, v9
	v_sub_f32_e32 v8, v9, v8
	v_sub_f32_e32 v3, v3, v12
	;; [unrolled: 1-line block ×6, first 2 shown]
	v_add_f32_e32 v9, v3, v4
	v_sub_f32_e32 v7, v7, v13
	v_add_f32_e32 v7, v8, v7
	v_sub_f32_e32 v8, v9, v3
	;; [unrolled: 2-line block ×3, first 2 shown]
	v_sub_f32_e32 v4, v4, v8
	v_add_f32_e32 v11, v10, v7
	v_sub_f32_e32 v3, v3, v9
	v_sub_f32_e32 v8, v11, v10
	v_add_f32_e32 v3, v4, v3
	v_sub_f32_e32 v4, v7, v8
	v_add_f32_e32 v3, v3, v4
	v_add_f32_e32 v4, v11, v3
	v_sub_f32_e32 v7, v4, v11
	v_mul_f32_e32 v8, v5, v4
	v_sub_f32_e32 v3, v3, v7
	v_fma_f32 v4, v5, v4, -v8
	v_cmp_class_f32_e64 vcc_lo, v8, 0x204
	v_fmac_f32_e32 v4, v5, v3
	v_add_f32_e32 v3, v8, v4
	v_cndmask_b32_e32 v7, v3, v8, vcc_lo
	v_sub_f32_e32 v3, v3, v8
	v_cmp_eq_f32_e32 vcc_lo, 0x42b17218, v7
	v_sub_f32_e32 v3, v4, v3
	v_cndmask_b32_e64 v9, 0, 0x37000000, vcc_lo
	v_cmp_neq_f32_e64 vcc_lo, 0x7f800000, |v7|
	v_sub_f32_e32 v10, v7, v9
	v_cndmask_b32_e32 v3, 0, v3, vcc_lo
	v_trunc_f32_e32 v7, v5
	v_mul_f32_e32 v11, 0x3fb8aa3b, v10
	v_cmp_ngt_f32_e32 vcc_lo, 0xc2ce8ed0, v10
	v_add_f32_e32 v3, v9, v3
	v_fma_f32 v12, 0x3fb8aa3b, v10, -v11
	v_rndne_f32_e32 v13, v11
	v_fmamk_f32 v12, v10, 0x32a5705f, v12
	v_sub_f32_e32 v11, v11, v13
	v_cvt_i32_f32_e32 v8, v13
	v_add_f32_e32 v11, v11, v12
	v_exp_f32_e32 v11, v11
	v_ldexp_f32 v4, v11, v8
	v_mul_f32_e32 v8, 0.5, v5
	v_cndmask_b32_e32 v4, 0, v4, vcc_lo
	v_cmp_nlt_f32_e32 vcc_lo, 0x42b17218, v10
	v_trunc_f32_e32 v11, v8
	v_cndmask_b32_e32 v4, 0x7f800000, v4, vcc_lo
	v_cmp_eq_f32_e32 vcc_lo, v7, v5
	v_cmp_neq_f32_e64 s0, v11, v8
	v_fma_f32 v3, v4, v3, v4
	v_cmp_class_f32_e64 s1, v4, 0x204
	s_and_b32 s0, vcc_lo, s0
	v_cndmask_b32_e64 v7, 1.0, v6, s0
	v_cndmask_b32_e64 v3, v3, v4, s1
	v_cmp_gt_f32_e64 s1, 0, v5
	v_bfi_b32 v3, 0x7fffffff, v3, v7
	s_xor_b32 s1, s1, s2
	v_cndmask_b32_e64 v7, 0, v6, s0
	v_cndmask_b32_e64 v4, 0x7f800000, 0, s1
	v_cmp_class_f32_e64 s0, v6, 0x204
	v_cndmask_b32_e32 v5, 0x7fc00000, v3, vcc_lo
	v_cmp_gt_f32_e32 vcc_lo, 0, v6
	v_bfi_b32 v4, 0x7fffffff, v4, v7
	v_cndmask_b32_e32 v3, v3, v5, vcc_lo
	s_or_b32 vcc_lo, s2, s0
	v_cndmask_b32_e32 v3, v3, v4, vcc_lo
	v_cmp_o_f32_e32 vcc_lo, v6, v6
	v_cndmask_b32_e32 v77, 0x7fc00000, v3, vcc_lo
.LBB19_2:
	s_waitcnt lgkmcnt(0)
	s_load_dwordx2 s[0:1], s[4:5], 0x4
	s_load_dwordx16 s[12:27], s[6:7], 0x0
	v_mov_b32_e32 v14, 0
	v_lshlrev_b32_e32 v72, 8, v1
	v_lshlrev_b32_e32 v74, 2, v0
	s_lshl_b32 s30, s8, 1
	s_mov_b32 s4, exec_lo
	s_waitcnt lgkmcnt(0)
	v_mul_u32_u24_e32 v3, s1, v1
	s_lshr_b32 s0, s0, 16
	s_mul_i32 s0, s0, s1
	v_mad_u32_u24 v3, s0, v0, v3
	v_cmp_lt_u32_e64 s0, 1, v1
	v_add_lshl_u32 v19, v3, v2, 4
	v_add_nc_u32_e32 v2, 0x604, v19
	v_add_nc_u32_e32 v3, 0x400, v19
	ds_write2_b32 v2, v14, v14 offset1:1
	ds_write2_b32 v3, v14, v14 offset0:128 offset1:131
	v_cmpx_gt_u32_e32 2, v1
	s_cbranch_execz .LBB19_13
; %bb.3:
	v_or_b32_e32 v2, s30, v1
	v_add_nc_u32_e32 v3, v72, v74
	s_mov_b32 s1, exec_lo
	v_cmpx_le_i32_e64 s36, v2
	s_xor_b32 s1, exec_lo, s1
	s_cbranch_execz .LBB19_7
; %bb.4:
	v_mov_b32_e32 v2, 0
	s_mov_b32 s2, exec_lo
	ds_write_b32 v3, v2
	v_cmpx_gt_u32_e32 4, v0
; %bb.5:
	v_add_nc_u32_e32 v4, v3, v74
	v_mov_b32_e32 v3, v2
	ds_write_b64 v4, v[2:3] offset:128
; %bb.6:
	s_or_b32 exec_lo, exec_lo, s2
                                        ; implicit-def: $vgpr3
.LBB19_7:
	s_andn2_saveexec_b32 s1, s1
	s_cbranch_execz .LBB19_13
; %bb.8:
	s_load_dwordx4 s[44:47], s[6:7], 0x70
	v_lshlrev_b32_e32 v4, 2, v74
	s_mov_b32 s5, exec_lo
	s_waitcnt lgkmcnt(0)
	v_mul_lo_u32 v2, s44, v1
	s_mul_i32 s1, s33, s46
	s_mul_i32 s2, s44, s30
	;; [unrolled: 1-line block ×3, first 2 shown]
	s_add_i32 s1, s1, s2
	s_add_i32 s1, s1, s3
	s_ashr_i32 s2, s1, 31
	v_ashrrev_i32_e32 v5, 31, v2
	s_add_u32 s1, s12, s1
	s_addc_u32 s2, s13, s2
	v_add_co_u32 v2, vcc_lo, s1, v2
	v_add_co_ci_u32_e64 v5, null, s2, v5, vcc_lo
	v_add_co_u32 v4, vcc_lo, v2, v4
	v_add_co_ci_u32_e64 v5, null, 0, v5, vcc_lo
	v_mbcnt_lo_u32_b32 v2, -1, 0
	global_load_dwordx4 v[10:13], v[4:5], off
	v_xor_b32_e32 v5, 4, v2
	v_xor_b32_e32 v15, 2, v2
	;; [unrolled: 1-line block ×3, first 2 shown]
	v_cmp_gt_i32_e32 vcc_lo, 32, v5
	v_cndmask_b32_e32 v5, v2, v5, vcc_lo
	v_cmp_gt_i32_e32 vcc_lo, 32, v15
	v_lshlrev_b32_e32 v5, 2, v5
	v_cndmask_b32_e32 v15, v2, v15, vcc_lo
	v_cmp_gt_i32_e32 vcc_lo, 32, v16
	v_lshlrev_b32_e32 v15, 2, v15
	v_cndmask_b32_e32 v2, v2, v16, vcc_lo
	v_lshlrev_b32_e32 v2, 2, v2
	s_waitcnt vmcnt(0)
	v_mul_f32_e32 v4, s28, v10
	v_mul_f32_e32 v6, s28, v11
	v_mul_f32_e32 v9, s28, v12
	v_mul_f32_e32 v8, s28, v13
	v_max_f32_e64 v7, |v4|, |v6|
	v_fma_f32 v10, s28, v10, v6
	v_max3_f32 v7, v7, |v9|, |v8|
	v_fmac_f32_e32 v10, s28, v12
	ds_bpermute_b32 v11, v5, v7
	v_fmac_f32_e32 v10, s28, v13
	ds_bpermute_b32 v5, v5, v10
	s_waitcnt lgkmcnt(1)
	v_max_f32_e32 v11, v11, v11
	v_max_f32_e32 v7, v7, v11
	s_waitcnt lgkmcnt(0)
	v_add_f32_e32 v5, v10, v5
	ds_bpermute_b32 v11, v15, v7
	ds_bpermute_b32 v10, v15, v5
	s_waitcnt lgkmcnt(1)
	v_max_f32_e32 v11, v11, v11
	s_waitcnt lgkmcnt(0)
	v_add_f32_e32 v5, v5, v10
	v_mov_b32_e32 v10, 0
	v_max_f32_e32 v7, v7, v11
	ds_bpermute_b32 v11, v2, v7
	s_waitcnt lgkmcnt(0)
	v_max_f32_e32 v11, v11, v11
	v_max_f32_e32 v11, v7, v11
	v_div_scale_f32 v12, null, 0x42fe0000, 0x42fe0000, v11
	v_div_scale_f32 v15, vcc_lo, v11, 0x42fe0000, v11
	v_rcp_f32_e32 v13, v12
	v_fma_f32 v7, -v12, v13, 1.0
	v_fmac_f32_e32 v13, v7, v13
	v_mul_f32_e32 v16, v15, v13
	v_fma_f32 v7, -v12, v16, v15
	v_fmac_f32_e32 v16, v7, v13
	ds_bpermute_b32 v7, v2, v5
	v_fma_f32 v2, -v12, v16, v15
	v_div_fmas_f32 v2, v2, v13, v16
	v_div_fixup_f32 v2, v2, 0x42fe0000, v11
	v_cmpx_neq_f32_e32 0, v2
	s_cbranch_execz .LBB19_10
; %bb.9:
	v_div_scale_f32 v10, null, v2, v2, v4
	v_div_scale_f32 v11, null, v2, v2, v6
	;; [unrolled: 1-line block ×3, first 2 shown]
	v_rcp_f32_e32 v12, v10
	v_div_scale_f32 v15, null, v2, v2, v8
	v_rcp_f32_e32 v16, v11
	v_rcp_f32_e32 v17, v13
	v_div_scale_f32 v22, vcc_lo, v4, v2, v4
	v_rcp_f32_e32 v18, v15
	v_fma_f32 v20, -v10, v12, 1.0
	v_fma_f32 v21, -v11, v16, 1.0
	;; [unrolled: 1-line block ×3, first 2 shown]
	v_fmac_f32_e32 v12, v20, v12
	v_div_scale_f32 v20, s1, v6, v2, v6
	v_fma_f32 v24, -v15, v18, 1.0
	v_fmac_f32_e32 v16, v21, v16
	v_fmac_f32_e32 v17, v23, v17
	v_div_scale_f32 v21, s2, v9, v2, v9
	v_fmac_f32_e32 v18, v24, v18
	v_mul_f32_e32 v24, v22, v12
	v_mul_f32_e32 v25, v20, v16
	;; [unrolled: 1-line block ×3, first 2 shown]
	v_div_scale_f32 v23, s3, v8, v2, v8
	v_fma_f32 v28, -v10, v24, v22
	v_fma_f32 v29, -v11, v25, v20
	;; [unrolled: 1-line block ×3, first 2 shown]
	v_mul_f32_e32 v27, v23, v18
	v_fmac_f32_e32 v24, v28, v12
	v_fmac_f32_e32 v25, v29, v16
	;; [unrolled: 1-line block ×3, first 2 shown]
	v_fma_f32 v31, -v15, v27, v23
	v_fma_f32 v10, -v10, v24, v22
	v_fma_f32 v11, -v11, v25, v20
	v_fma_f32 v13, -v13, v26, v21
	v_fmac_f32_e32 v27, v31, v18
	v_div_fmas_f32 v10, v10, v12, v24
	s_mov_b32 vcc_lo, s1
	v_div_fmas_f32 v11, v11, v16, v25
	s_mov_b32 vcc_lo, s2
	v_div_fixup_f32 v4, v10, v2, v4
	v_div_fmas_f32 v12, v13, v17, v26
	v_fma_f32 v13, -v15, v27, v23
	s_mov_b32 vcc_lo, s3
	v_div_fixup_f32 v6, v11, v2, v6
	v_div_fixup_f32 v9, v12, v2, v9
	v_div_fmas_f32 v12, v13, v18, v27
	v_trunc_f32_e32 v11, v6
	v_trunc_f32_e32 v13, v9
	v_div_fixup_f32 v8, v12, v2, v8
	v_trunc_f32_e32 v12, v4
	v_sub_f32_e32 v16, v6, v11
	v_sub_f32_e32 v10, v9, v13
	v_trunc_f32_e32 v15, v8
	v_sub_f32_e32 v18, v4, v12
	v_cmp_ge_f32_e64 s1, |v10|, 0.5
	v_sub_f32_e32 v17, v8, v15
	v_cndmask_b32_e64 v10, 0, 1.0, s1
	v_cmp_ge_f32_e64 s1, |v16|, 0.5
	v_bfi_b32 v9, 0x7fffffff, v10, v9
	v_cndmask_b32_e64 v10, 0, 1.0, s1
	v_cmp_ge_f32_e64 s1, |v17|, 0.5
	v_add_f32_e32 v9, v13, v9
	v_bfi_b32 v6, 0x7fffffff, v10, v6
	v_cndmask_b32_e64 v16, 0, 1.0, s1
	v_cmp_ge_f32_e64 s1, |v18|, 0.5
	v_mov_b32_e32 v10, 8
	v_cvt_i32_f32_e32 v9, v9
	v_add_f32_e32 v6, v11, v6
	v_bfi_b32 v8, 0x7fffffff, v16, v8
	v_cndmask_b32_e64 v13, 0, 1.0, s1
	v_and_b32_e32 v9, 0xff, v9
	v_cvt_i32_f32_e32 v6, v6
	v_add_f32_e32 v8, v15, v8
	v_bfi_b32 v4, 0x7fffffff, v13, v4
	v_lshlrev_b32_e32 v9, 16, v9
	v_lshlrev_b32_sdwa v6, v10, v6 dst_sel:DWORD dst_unused:UNUSED_PAD src0_sel:DWORD src1_sel:BYTE_0
	v_cvt_i32_f32_e32 v8, v8
	v_add_f32_e32 v4, v12, v4
	v_lshl_or_b32 v8, v8, 24, v9
	v_cvt_i32_f32_e32 v4, v4
	v_and_b32_e32 v4, 0xff, v4
	v_or3_b32 v10, v8, v6, v4
.LBB19_10:
	s_or_b32 exec_lo, exec_lo, s5
	v_and_b32_e32 v4, 7, v0
	s_mov_b32 s1, exec_lo
	ds_write_b32 v3, v10
	v_cmpx_eq_u32_e32 0, v4
	s_cbranch_execz .LBB19_12
; %bb.11:
	s_waitcnt lgkmcnt(1)
	v_add_f32_e32 v3, v5, v7
	v_add_nc_u32_e32 v4, v72, v0
	ds_write_b64 v4, v[2:3] offset:128
.LBB19_12:
	s_or_b32 exec_lo, exec_lo, s1
.LBB19_13:
	s_or_b32 exec_lo, exec_lo, s4
	v_and_b32_e32 v20, 1, v0
	s_waitcnt lgkmcnt(0)
	s_barrier
	buffer_gl0_inv
	s_cmp_eq_u64 s[22:23], 0
	v_lshlrev_b32_e32 v79, 2, v20
	s_mov_b32 s31, s40
	ds_read_b128 v[2:5], v14 offset:128
	ds_read_b128 v[6:9], v14 offset:144
	ds_read2_b32 v[38:39], v79 offset1:2
	ds_read2_b32 v[40:41], v79 offset0:4 offset1:6
	ds_read2_b32 v[42:43], v79 offset0:8 offset1:10
	;; [unrolled: 1-line block ×12, first 2 shown]
	ds_read_b128 v[10:13], v14 offset:384
	ds_read_b128 v[14:17], v14 offset:400
	ds_read2_b32 v[64:65], v79 offset0:84 offset1:86
	ds_read2_b32 v[66:67], v79 offset0:88 offset1:90
	;; [unrolled: 1-line block ×3, first 2 shown]
	s_waitcnt lgkmcnt(0)
	s_barrier
	buffer_gl0_inv
	s_cbranch_scc1 .LBB19_15
; %bb.14:
	s_load_dword s1, s[6:7], 0xd0
	s_mov_b32 s3, 0
	s_waitcnt lgkmcnt(0)
	s_mul_i32 s1, s1, s33
	s_add_i32 s2, s1, s8
	s_lshl_b64 s[2:3], s[2:3], 2
	s_add_u32 s2, s22, s2
	s_addc_u32 s3, s23, s3
	s_load_dword s31, s[2:3], 0x0
.LBB19_15:
	v_lshlrev_b32_e32 v18, 5, v1
	v_add_nc_u32_e32 v76, 0x600, v19
	v_mbcnt_lo_u32_b32 v78, -1, 0
	s_lshl_b32 s2, s34, 7
	s_mov_b32 s3, 0
	v_add_nc_u32_e32 v73, v18, v0
	s_waitcnt lgkmcnt(0)
	s_cmp_ge_i32 s2, s31
	v_lshlrev_b32_e32 v75, 1, v73
	s_cbranch_scc1 .LBB19_27
; %bb.16:
	s_clause 0x1
	s_load_dwordx4 s[8:11], s[6:7], 0x98
	s_load_dwordx2 s[12:13], s[6:7], 0x8c
	s_sub_i32 s1, 0, s39
	s_sub_i32 s4, 0, s35
	s_mul_i32 s1, s1, s42
	s_abs_i32 s22, s38
	s_mul_hi_u32 s1, s42, s1
	s_mul_i32 s4, s4, s29
	s_add_i32 s42, s42, s1
	s_ashr_i32 s23, s38, 31
	s_ashr_i32 s41, s41, 31
	;; [unrolled: 1-line block ×3, first 2 shown]
	s_mul_hi_u32 s1, s29, s4
	s_mul_hi_u32 s4, s22, s42
	s_xor_b32 s44, s23, s41
	s_add_i32 s29, s29, s1
	s_mul_i32 s1, s4, s39
	s_abs_i32 s28, s33
	s_sub_i32 s1, s22, s1
	s_add_i32 s23, s4, 1
	s_waitcnt lgkmcnt(0)
	s_mul_hi_u32 s41, s8, s33
	s_mul_i32 s42, s8, s5
	s_mul_i32 s9, s9, s33
	s_add_i32 s41, s41, s42
	v_and_b32_e32 v19, 0x7e, v0
	s_add_i32 s41, s41, s9
	s_sub_i32 s9, s1, s39
	s_cmp_ge_u32 s1, s39
	v_bfe_u32 v25, v0, 3, 27
	s_cselect_b32 s4, s23, s4
	s_cselect_b32 s1, s9, s1
	s_add_i32 s9, s4, 1
	s_cmp_ge_u32 s1, s39
	s_load_dwordx2 s[22:23], s[6:7], 0xc8
	s_cselect_b32 s1, s9, s4
	s_mul_hi_u32 s4, s28, s29
	s_xor_b32 s1, s1, s44
	s_mul_i32 s4, s4, s35
	s_sub_i32 s45, s1, s44
	s_sub_i32 s1, s28, s4
	s_mul_i32 s42, s45, s13
	s_mul_i32 s45, s45, s11
	s_ashr_i32 s44, s42, 31
	s_ashr_i32 s46, s45, 31
	s_sub_i32 s4, s1, s35
	s_cmp_ge_u32 s1, s35
	s_clause 0x1
	s_load_dword s9, s[6:7], 0xd4
	s_load_dwordx2 s[28:29], s[6:7], 0xa8
	s_cselect_b32 s1, s4, s1
	s_mul_i32 s11, s43, s30
	s_sub_i32 s4, s1, s35
	s_cmp_ge_u32 s1, s35
	v_add_nc_u32_e32 v19, v18, v19
	s_cselect_b32 s1, s4, s1
	v_mul_hi_u32_u24_e32 v26, 34, v25
	s_xor_b32 s1, s1, s5
	v_mul_u32_u24_e32 v25, 34, v25
	s_sub_i32 s1, s1, s5
	v_add_nc_u32_e32 v21, s40, v19
	s_ashr_i32 s4, s1, 31
	s_waitcnt lgkmcnt(0)
	s_mul_hi_u32 s13, s22, s1
	s_mul_i32 s4, s22, s4
	s_mul_i32 s23, s23, s1
	s_add_i32 s43, s13, s4
	s_ashr_i32 s13, s11, 31
	s_add_i32 s43, s43, s23
	s_cmp_lg_u64 s[18:19], 0
	s_mul_i32 s47, s22, s1
	s_cselect_b32 s22, -1, 0
	s_lshl_b32 s4, s9, 7
	s_cmp_lt_i32 s30, s36
	v_ashrrev_i32_e32 v22, 31, v21
	s_cselect_b32 s1, -1, 0
	v_mul_lo_u32 v27, v18, s10
	s_and_b32 s35, s22, s1
	s_or_b32 s1, s30, 1
	v_mad_u64_u32 v[25:26], null, s28, s33, v[25:26]
	s_cmp_lt_i32 s1, s36
	v_lshlrev_b64 v[21:22], 1, v[21:22]
	s_cselect_b32 s9, -1, 0
	s_mul_i32 s29, s29, s33
	s_and_b32 s39, s22, s9
	s_ashr_i32 s9, s40, 31
	v_add_co_u32 v23, s22, s40, v19
	v_add_co_ci_u32_e64 v24, null, s9, 0, s22
	s_add_u32 s48, s14, s42
	s_addc_u32 s40, s15, s44
	s_lshl_b64 s[22:23], s[2:3], 1
	v_lshlrev_b64 v[23:24], 1, v[23:24]
	s_add_u32 s9, s18, s22
	s_addc_u32 s49, s19, s23
	s_add_u32 s9, s9, s47
	s_mul_i32 s5, s28, s5
	s_addc_u32 s49, s49, s43
	v_add_co_u32 v80, vcc_lo, s9, v21
	v_and_b32_e32 v28, 28, v74
	v_ashrrev_i32_e32 v30, 31, v27
	v_add3_u32 v26, s5, s29, v26
	v_add_co_ci_u32_e64 v81, null, s49, v22, vcc_lo
	v_add_co_u32 v23, vcc_lo, s9, v23
	v_add_co_ci_u32_e64 v24, null, s49, v24, vcc_lo
	v_add_co_u32 v21, vcc_lo, v25, v27
	v_add_nc_u32_e32 v29, s10, v27
	v_add_co_ci_u32_e64 v22, null, v26, v30, vcc_lo
	v_add_co_u32 v32, vcc_lo, v25, v28
	v_add_co_ci_u32_e64 v70, null, 0, v26, vcc_lo
	v_add_co_u32 v35, vcc_lo, v25, s45
	v_ashrrev_i32_e32 v31, 31, v29
	v_add_co_ci_u32_e64 v36, null, s46, v26, vcc_lo
	v_add_co_u32 v27, vcc_lo, v32, v27
	v_add_co_ci_u32_e64 v28, null, v70, v30, vcc_lo
	v_add_co_u32 v25, vcc_lo, v35, v29
	;; [unrolled: 2-line block ×3, first 2 shown]
	v_add_nc_u32_e32 v32, 31, v18
	v_add_nc_u32_e32 v33, s10, v29
	v_add_co_ci_u32_e64 v70, null, s46, v70, vcc_lo
	v_add_nc_u32_e32 v71, 30, v18
	v_mul_lo_u32 v83, s10, v32
	v_cmp_eq_u32_e64 s1, 0, v20
	v_add_nc_u32_e32 v20, s10, v33
	v_ashrrev_i32_e32 v34, 31, v33
	v_add_co_u32 v29, vcc_lo, v37, v29
	v_add_co_ci_u32_e64 v30, null, v70, v31, vcc_lo
	v_add_co_u32 v31, vcc_lo, v35, v33
	v_mul_lo_u32 v85, s10, v71
	v_ashrrev_i32_e32 v84, 31, v83
	v_add_nc_u32_e32 v86, s10, v20
	v_add_co_ci_u32_e64 v32, null, v36, v34, vcc_lo
	v_add_co_u32 v33, vcc_lo, v37, v33
	v_add_nc_u32_e32 v87, 29, v18
	v_add_co_ci_u32_e64 v34, null, v70, v34, vcc_lo
	v_add_co_u32 v71, vcc_lo, v37, v83
	v_add_co_ci_u32_e64 v82, null, v70, v84, vcc_lo
	v_add_nc_u32_e32 v88, s10, v86
	v_add_co_u32 v83, vcc_lo, v35, v83
	v_mul_lo_u32 v87, s10, v87
	v_add_co_ci_u32_e64 v119, null, v36, v84, vcc_lo
	v_ashrrev_i32_e32 v84, 31, v85
	v_add_nc_u32_e32 v90, 28, v18
	v_add_nc_u32_e32 v89, s10, v88
	v_add_co_u32 v120, vcc_lo, v37, v85
	v_add_co_ci_u32_e64 v121, null, v70, v84, vcc_lo
	v_add_co_u32 v122, vcc_lo, v35, v85
	v_mul_lo_u32 v85, s10, v90
	v_add_co_ci_u32_e64 v123, null, v36, v84, vcc_lo
	v_ashrrev_i32_e32 v84, 31, v87
	v_add_nc_u32_e32 v91, s10, v89
	v_add_nc_u32_e32 v92, 27, v18
	v_add_co_u32 v124, vcc_lo, v37, v87
	v_add_co_ci_u32_e64 v125, null, v70, v84, vcc_lo
	v_add_co_u32 v126, vcc_lo, v35, v87
	v_add_nc_u32_e32 v90, s10, v91
	v_mul_lo_u32 v87, s10, v92
	v_add_co_ci_u32_e64 v127, null, v36, v84, vcc_lo
	v_ashrrev_i32_e32 v84, 31, v85
	v_add_co_u32 v128, vcc_lo, v37, v85
	v_add_nc_u32_e32 v93, s10, v90
	v_add_nc_u32_e32 v97, 26, v18
	v_add_co_ci_u32_e64 v129, null, v70, v84, vcc_lo
	v_add_co_u32 v130, vcc_lo, v35, v85
	v_add_co_ci_u32_e64 v131, null, v36, v84, vcc_lo
	v_ashrrev_i32_e32 v84, 31, v87
	v_add_nc_u32_e32 v92, s10, v93
	v_add_co_u32 v132, vcc_lo, v37, v87
	v_add_nc_u32_e32 v85, 25, v18
	v_add_co_ci_u32_e64 v133, null, v70, v84, vcc_lo
	v_add_co_u32 v134, vcc_lo, v35, v87
	v_add_nc_u32_e32 v94, s10, v92
	v_add_co_ci_u32_e64 v135, null, v36, v84, vcc_lo
	v_mul_lo_u32 v84, s10, v97
	v_add_nc_u32_e32 v98, 24, v18
	v_mul_lo_u32 v85, s10, v85
	v_add_nc_u32_e32 v95, s10, v94
	v_add_nc_u32_e32 v99, 23, v18
	;; [unrolled: 1-line block ×3, first 2 shown]
	v_mul_lo_u32 v87, s10, v98
	v_add_nc_u32_e32 v102, 20, v18
	v_ashrrev_i32_e32 v143, 31, v84
	v_add_nc_u32_e32 v96, s10, v95
	v_mul_lo_u32 v98, s10, v99
	v_add_nc_u32_e32 v99, 22, v18
	v_add_co_u32 v145, vcc_lo, v37, v84
	v_ashrrev_i32_e32 v106, 31, v85
	v_add_co_ci_u32_e64 v146, null, v70, v143, vcc_lo
	v_add_co_u32 v147, vcc_lo, v35, v84
	v_add_nc_u32_e32 v100, s10, v96
	v_add_co_ci_u32_e64 v143, null, v36, v143, vcc_lo
	v_add_co_u32 v148, vcc_lo, v37, v85
	v_mul_lo_u32 v99, s10, v99
	v_ashrrev_i32_e32 v107, 31, v87
	v_add_co_ci_u32_e64 v149, null, v70, v106, vcc_lo
	v_add_co_u32 v150, vcc_lo, v35, v85
	v_add_co_ci_u32_e64 v151, null, v36, v106, vcc_lo
	v_add_co_u32 v152, vcc_lo, v37, v87
	v_add_nc_u32_e32 v97, s10, v100
	v_mul_lo_u32 v101, s10, v101
	v_ashrrev_i32_e32 v108, 31, v98
	v_add_co_ci_u32_e64 v153, null, v70, v107, vcc_lo
	v_add_co_u32 v154, vcc_lo, v35, v87
	v_add_nc_u32_e32 v104, 19, v18
	v_add_co_ci_u32_e64 v155, null, v36, v107, vcc_lo
	v_add_co_u32 v156, vcc_lo, v37, v98
	v_mul_lo_u32 v102, s10, v102
	v_ashrrev_i32_e32 v110, 31, v99
	v_add_nc_u32_e32 v103, s10, v97
	v_add_co_ci_u32_e64 v157, null, v70, v108, vcc_lo
	v_add_co_u32 v158, vcc_lo, v35, v98
	v_add_co_ci_u32_e64 v159, null, v36, v108, vcc_lo
	v_add_co_u32 v160, vcc_lo, v37, v99
	v_mul_lo_u32 v104, s10, v104
	v_ashrrev_i32_e32 v111, 31, v101
	v_add_co_ci_u32_e64 v161, null, v70, v110, vcc_lo
	v_add_co_u32 v162, vcc_lo, v35, v99
	v_add_nc_u32_e32 v105, s10, v103
	v_add_co_ci_u32_e64 v163, null, v36, v110, vcc_lo
	v_add_co_u32 v164, vcc_lo, v37, v101
	v_ashrrev_i32_e32 v112, 31, v102
	v_add_co_ci_u32_e64 v165, null, v70, v111, vcc_lo
	v_add_co_u32 v166, vcc_lo, v35, v101
	v_add_nc_u32_e32 v109, s10, v105
	v_add_co_ci_u32_e64 v167, null, v36, v111, vcc_lo
	v_add_co_u32 v168, vcc_lo, v37, v102
	v_ashrrev_i32_e32 v113, 31, v104
	v_add_co_ci_u32_e64 v169, null, v70, v112, vcc_lo
	v_add_co_u32 v170, vcc_lo, v35, v102
	v_add_co_ci_u32_e64 v171, null, v36, v112, vcc_lo
	v_add_co_u32 v172, vcc_lo, v37, v104
	v_ashrrev_i32_e32 v114, 31, v109
	v_add_co_ci_u32_e64 v173, null, v70, v113, vcc_lo
	v_add_co_u32 v174, vcc_lo, v35, v104
	;; [unrolled: 5-line block ×15, first 2 shown]
	v_add_co_ci_u32_e64 v227, null, v36, v144, vcc_lo
	v_add_co_u32 v228, vcc_lo, v37, v88
	v_ashrrev_i32_e32 v87, 31, v20
	v_and_b32_e32 v89, 30, v78
	v_add_co_ci_u32_e64 v229, null, v70, v84, vcc_lo
	v_add_co_u32 v230, vcc_lo, v35, v88
	v_ashrrev_i32_e32 v85, 31, v86
	v_add_co_ci_u32_e64 v231, null, v36, v84, vcc_lo
	v_add_co_u32 v114, vcc_lo, v35, v20
	v_add_co_ci_u32_e64 v115, null, v36, v87, vcc_lo
	v_add_co_u32 v35, vcc_lo, v35, v86
	v_add_nc_u32_e32 v84, 2, v89
	v_xor_b32_e32 v88, 1, v78
	v_add_co_ci_u32_e64 v36, null, v36, v85, vcc_lo
	v_add_co_u32 v232, vcc_lo, v37, v86
	v_add_co_ci_u32_e64 v233, null, v70, v85, vcc_lo
	v_add_co_u32 v37, vcc_lo, v37, v20
	v_add_co_ci_u32_e64 v70, null, v70, v87, vcc_lo
	v_cmp_lt_i32_e32 vcc_lo, v88, v84
	v_xor_b32_e32 v85, 2, v78
	v_xor_b32_e32 v86, 4, v78
	;; [unrolled: 1-line block ×3, first 2 shown]
	s_mul_i32 s29, s8, s33
	v_cndmask_b32_e32 v20, v78, v88, vcc_lo
	v_cmp_gt_i32_e32 vcc_lo, 32, v85
	v_xor_b32_e32 v88, 16, v78
	s_mov_b32 s5, s3
	v_add_co_u32 v102, s3, s29, v79
	v_lshlrev_b32_e32 v84, 2, v20
	v_mul_lo_u32 v20, v19, s12
	v_cndmask_b32_e32 v85, v78, v85, vcc_lo
	v_cmp_gt_i32_e32 vcc_lo, 32, v86
	v_add_co_ci_u32_e64 v103, null, s41, 0, s3
	s_lshl_b64 s[8:9], s[4:5], 1
	v_lshlrev_b32_e32 v19, 1, v19
	v_cndmask_b32_e32 v86, v78, v86, vcc_lo
	v_cmp_gt_i32_e32 vcc_lo, 32, v87
	v_add_nc_u32_e32 v100, s12, v20
	s_add_u32 s3, s47, s22
	s_addc_u32 s5, s43, s23
	v_lshlrev_b32_e32 v89, 1, v18
	v_cndmask_b32_e32 v87, v78, v87, vcc_lo
	v_cmp_gt_i32_e32 vcc_lo, 32, v88
	v_ashrrev_i32_e32 v101, 31, v100
	s_add_u32 s3, s18, s3
	s_addc_u32 s5, s19, s5
	v_add_co_u32 v19, s3, s3, v19
	v_cndmask_b32_e32 v88, v78, v88, vcc_lo
	v_add_co_u32 v18, vcc_lo, v102, v100
	v_add_co_ci_u32_e64 v91, null, v103, v101, vcc_lo
	v_add_co_ci_u32_e64 v93, null, s5, 0, s3
	v_add_co_u32 v90, vcc_lo, s48, v18
	v_add_co_ci_u32_e64 v91, null, s40, v91, vcc_lo
	v_add_co_u32 v92, vcc_lo, v19, 2
	v_add_co_ci_u32_e64 v93, null, 0, v93, vcc_lo
	v_add_co_u32 v94, vcc_lo, v23, 2
	s_add_u32 s3, s16, s45
	v_add_co_ci_u32_e64 v95, null, 0, v24, vcc_lo
	s_addc_u32 s5, s17, s46
	v_add_co_u32 v96, vcc_lo, s3, v21
	v_add_co_ci_u32_e64 v97, null, s5, v22, vcc_lo
	v_add_co_u32 v98, vcc_lo, s3, v27
	v_add_co_ci_u32_e64 v99, null, s5, v28, vcc_lo
	;; [unrolled: 2-line block ×3, first 2 shown]
	v_ashrrev_i32_e32 v21, 31, v20
	v_add_co_u32 v18, vcc_lo, v18, v20
	s_add_u32 s3, s48, s29
	s_addc_u32 s5, s40, s41
	v_add_co_ci_u32_e64 v19, null, v19, v21, vcc_lo
	v_add_co_u32 v100, vcc_lo, s3, v100
	v_add_co_ci_u32_e64 v101, null, s5, v101, vcc_lo
	v_add_co_u32 v102, vcc_lo, s14, v18
	;; [unrolled: 2-line block ×4, first 2 shown]
	s_add_u32 s3, s29, s42
	s_addc_u32 s5, s41, s44
	v_add_co_ci_u32_e64 v107, null, s17, v30, vcc_lo
	v_add_co_u32 v108, vcc_lo, s16, v31
	s_add_u32 s3, s14, s3
	v_add_co_ci_u32_e64 v109, null, s17, v32, vcc_lo
	s_addc_u32 s5, s15, s5
	v_add_co_u32 v18, vcc_lo, s3, v20
	v_add_co_ci_u32_e64 v19, null, s5, v21, vcc_lo
	v_add_co_u32 v110, vcc_lo, s16, v33
	v_add_co_ci_u32_e64 v111, null, s17, v34, vcc_lo
	;; [unrolled: 2-line block ×53, first 2 shown]
	v_add_co_u32 v214, vcc_lo, s16, v222
	ds_read_b128 v[18:21], v76
	v_add_co_ci_u32_e64 v215, null, s17, v223, vcc_lo
	v_add_co_u32 v216, vcc_lo, s16, v224
	v_add_co_ci_u32_e64 v217, null, s17, v225, vcc_lo
	v_add_co_u32 v218, vcc_lo, s16, v226
	;; [unrolled: 2-line block ×7, first 2 shown]
	v_lshlrev_b32_e32 v85, 2, v85
	v_lshlrev_b32_e32 v86, 2, v86
	;; [unrolled: 1-line block ×4, first 2 shown]
	v_add_co_ci_u32_e64 v229, null, s17, v70, vcc_lo
	v_mov_b32_e32 v83, 0
	v_or_b32_e32 v230, 8, v79
	v_or_b32_e32 v231, 16, v79
	;; [unrolled: 1-line block ×3, first 2 shown]
	v_mov_b32_e32 v27, 0xfeffffff
	v_mov_b32_e32 v233, 0x10001
	;; [unrolled: 1-line block ×5, first 2 shown]
	s_mul_i32 s28, s10, s2
	s_mul_i32 s3, s12, s2
	;; [unrolled: 1-line block ×4, first 2 shown]
.LBB19_17:                              ; =>This Inner Loop Header: Depth=1
	v_add_co_u32 v22, vcc_lo, v112, s3
	v_add_co_ci_u32_e64 v23, null, 0, v113, vcc_lo
	v_add_co_u32 v24, vcc_lo, v102, s3
	v_add_co_ci_u32_e64 v25, null, 0, v103, vcc_lo
	s_clause 0x2
	global_load_dwordx2 v[34:35], v[22:23], off offset:-76
	global_load_dwordx2 v[236:237], v[22:23], off offset:-52
	;; [unrolled: 1-line block ×3, first 2 shown]
	global_load_dword v28, v[24:25], off offset:8
	s_and_b32 vcc_lo, exec_lo, s35
	s_waitcnt vmcnt(3)
	v_ashrrev_i32_e32 v30, v79, v35
	s_waitcnt vmcnt(2)
	v_cvt_f32_f16_e32 v235, v236
	s_waitcnt vmcnt(0)
	v_and_b32_e32 v29, 0xf0f0f0f, v28
	v_lshrrev_b32_e32 v28, 4, v28
	v_lshlrev_b32_e32 v31, 4, v30
	v_lshlrev_b32_e32 v32, 11, v30
	;; [unrolled: 1-line block ×4, first 2 shown]
	v_and_b32_e32 v28, 0xf0f0f0f, v28
	v_and_b32_e32 v31, 16, v31
	;; [unrolled: 1-line block ×5, first 2 shown]
	v_or3_b32 v29, v30, v29, v33
	v_cvt_f32_f16_e32 v33, v34
	v_or3_b32 v29, v29, v31, v32
	v_cvt_f32_f16_sdwa v32, v34 dst_sel:DWORD dst_unused:UNUSED_PAD src0_sel:WORD_1
	global_load_dword v34, v[24:25], off offset:16
	v_ashrrev_i32_e32 v31, v230, v35
	v_lshlrev_b32_e32 v36, 4, v31
	v_lshlrev_b32_e32 v37, 11, v31
	;; [unrolled: 1-line block ×4, first 2 shown]
	v_and_b32_e32 v36, 16, v36
	v_and_b32_e32 v37, 0x1000, v37
	;; [unrolled: 1-line block ×4, first 2 shown]
	v_or3_b32 v31, v70, v31, v36
	s_waitcnt vmcnt(0)
	v_and_b32_e32 v30, 0xf0f0f0f, v34
	v_or3_b32 v30, v31, v37, v30
	v_ashrrev_i32_e32 v31, v231, v35
	v_lshlrev_b32_e32 v36, 4, v31
	v_lshlrev_b32_e32 v37, 11, v31
	;; [unrolled: 1-line block ×4, first 2 shown]
	v_and_b32_e32 v36, 16, v36
	v_and_b32_e32 v37, 0x1000, v37
	v_and_b32_e32 v70, 0x100000, v70
	v_and_b32_e32 v31, 0x10000000, v31
	v_or3_b32 v28, v31, v28, v70
	v_or3_b32 v31, v28, v36, v37
	v_lshrrev_b32_e32 v28, 4, v34
	v_ashrrev_i32_e32 v34, v232, v35
	v_and_b32_e32 v28, 0xf0f0f0f, v28
	v_lshlrev_b32_e32 v35, 4, v34
	v_lshlrev_b32_e32 v36, 11, v34
	;; [unrolled: 1-line block ×4, first 2 shown]
	v_and_b32_e32 v35, 16, v35
	v_and_b32_e32 v36, 0x1000, v36
	v_and_b32_e32 v37, 0x100000, v37
	v_and_b32_e32 v34, 0x10000000, v34
	v_or3_b32 v34, v37, v34, v35
	v_or3_b32 v34, v34, v36, v28
	global_load_dword v28, v[24:25], off offset:32
	v_ashrrev_i32_e32 v36, v79, v237
	v_lshlrev_b32_e32 v37, 4, v36
	v_lshlrev_b32_e32 v70, 11, v36
	v_lshlrev_b32_e32 v71, 18, v36
	v_lshlrev_b32_e32 v36, 25, v36
	v_and_b32_e32 v37, 16, v37
	v_and_b32_e32 v70, 0x1000, v70
	v_and_b32_e32 v71, 0x100000, v71
	v_and_b32_e32 v36, 0x10000000, v36
	s_waitcnt vmcnt(0)
	v_and_b32_e32 v35, 0xf0f0f0f, v28
	v_lshrrev_b32_e32 v28, 4, v28
	v_or3_b32 v35, v36, v35, v71
	v_cvt_f32_f16_sdwa v71, v236 dst_sel:DWORD dst_unused:UNUSED_PAD src0_sel:WORD_1
	v_and_b32_e32 v28, 0xf0f0f0f, v28
	v_or3_b32 v35, v35, v37, v70
	global_load_dword v70, v[24:25], off offset:40
	v_ashrrev_i32_e32 v37, v230, v237
	v_lshlrev_b32_e32 v236, 4, v37
	v_lshlrev_b32_e32 v238, 11, v37
	;; [unrolled: 1-line block ×4, first 2 shown]
	v_and_b32_e32 v236, 16, v236
	v_and_b32_e32 v238, 0x1000, v238
	;; [unrolled: 1-line block ×4, first 2 shown]
	v_or3_b32 v37, v239, v37, v236
	s_waitcnt vmcnt(0)
	v_and_b32_e32 v36, 0xf0f0f0f, v70
	v_or3_b32 v36, v37, v238, v36
	v_ashrrev_i32_e32 v37, v231, v237
	v_lshlrev_b32_e32 v236, 4, v37
	v_lshlrev_b32_e32 v238, 11, v37
	;; [unrolled: 1-line block ×4, first 2 shown]
	v_and_b32_e32 v236, 16, v236
	v_and_b32_e32 v238, 0x1000, v238
	;; [unrolled: 1-line block ×4, first 2 shown]
	v_or3_b32 v28, v37, v28, v239
	v_or3_b32 v37, v28, v236, v238
	v_lshrrev_b32_e32 v28, 4, v70
	v_ashrrev_i32_e32 v70, v232, v237
	v_and_b32_e32 v28, 0xf0f0f0f, v28
	v_lshlrev_b32_e32 v236, 4, v70
	v_lshlrev_b32_e32 v237, 11, v70
	v_lshlrev_b32_e32 v238, 18, v70
	v_lshlrev_b32_e32 v70, 25, v70
	v_and_b32_e32 v236, 16, v236
	v_and_b32_e32 v237, 0x1000, v237
	;; [unrolled: 1-line block ×4, first 2 shown]
	v_or3_b32 v70, v238, v70, v236
	v_or3_b32 v70, v70, v237, v28
	global_load_dword v28, v[24:25], off offset:56
	v_ashrrev_i32_e32 v237, v79, v241
	v_lshlrev_b32_e32 v238, 4, v237
	v_lshlrev_b32_e32 v239, 11, v237
	;; [unrolled: 1-line block ×4, first 2 shown]
	v_and_b32_e32 v238, 16, v238
	v_and_b32_e32 v239, 0x1000, v239
	;; [unrolled: 1-line block ×4, first 2 shown]
	s_waitcnt vmcnt(0)
	v_and_b32_e32 v236, 0xf0f0f0f, v28
	v_lshrrev_b32_e32 v28, 4, v28
	v_or3_b32 v236, v237, v236, v242
	global_load_dword v242, v[24:25], off offset:64
	v_and_b32_e32 v28, 0xf0f0f0f, v28
	v_or3_b32 v236, v236, v238, v239
	v_cvt_f32_f16_e32 v239, v240
	v_cvt_f32_f16_sdwa v238, v240 dst_sel:DWORD dst_unused:UNUSED_PAD src0_sel:WORD_1
	v_ashrrev_i32_e32 v240, v230, v241
	v_lshlrev_b32_e32 v243, 4, v240
	v_lshlrev_b32_e32 v244, 11, v240
	;; [unrolled: 1-line block ×4, first 2 shown]
	v_and_b32_e32 v243, 16, v243
	v_and_b32_e32 v244, 0x1000, v244
	;; [unrolled: 1-line block ×4, first 2 shown]
	v_or3_b32 v240, v245, v240, v243
	s_waitcnt vmcnt(0)
	v_and_b32_e32 v237, 0xf0f0f0f, v242
	v_or3_b32 v237, v240, v244, v237
	v_ashrrev_i32_e32 v240, v231, v241
	v_ashrrev_i32_e32 v241, v232, v241
	v_lshlrev_b32_e32 v243, 4, v240
	v_lshlrev_b32_e32 v244, 11, v240
	;; [unrolled: 1-line block ×4, first 2 shown]
	v_and_b32_e32 v243, 16, v243
	v_and_b32_e32 v244, 0x1000, v244
	;; [unrolled: 1-line block ×4, first 2 shown]
	v_or3_b32 v28, v240, v28, v245
	v_or3_b32 v240, v28, v243, v244
	v_lshrrev_b32_e32 v28, 4, v242
	v_lshlrev_b32_e32 v242, 4, v241
	v_lshlrev_b32_e32 v243, 11, v241
	;; [unrolled: 1-line block ×4, first 2 shown]
	v_and_b32_e32 v28, 0xf0f0f0f, v28
	v_and_b32_e32 v242, 16, v242
	;; [unrolled: 1-line block ×5, first 2 shown]
	v_or3_b32 v241, v244, v241, v242
	v_or3_b32 v241, v241, v243, v28
	global_load_dwordx2 v[242:243], v[22:23], off offset:-4
	global_load_dword v28, v[24:25], off offset:80
	s_waitcnt vmcnt(1)
	v_ashrrev_i32_e32 v22, v79, v243
	s_waitcnt vmcnt(0)
	v_and_b32_e32 v244, 0xf0f0f0f, v28
	v_lshlrev_b32_e32 v23, 4, v22
	v_lshlrev_b32_e32 v245, 11, v22
	;; [unrolled: 1-line block ×4, first 2 shown]
	v_and_b32_e32 v23, 16, v23
	v_and_b32_e32 v245, 0x1000, v245
	;; [unrolled: 1-line block ×4, first 2 shown]
	v_or3_b32 v22, v22, v244, v246
	global_load_dword v244, v[24:25], off offset:88
	v_ashrrev_i32_e32 v25, v230, v243
	v_or3_b32 v23, v22, v23, v245
	v_cvt_f32_f16_e32 v22, v242
	v_lshlrev_b32_e32 v245, 4, v25
	v_lshlrev_b32_e32 v246, 11, v25
	;; [unrolled: 1-line block ×4, first 2 shown]
	v_cvt_f32_f16_sdwa v242, v242 dst_sel:DWORD dst_unused:UNUSED_PAD src0_sel:WORD_1
	v_and_b32_e32 v245, 16, v245
	v_and_b32_e32 v246, 0x1000, v246
	;; [unrolled: 1-line block ×4, first 2 shown]
	v_or3_b32 v25, v247, v25, v245
	s_waitcnt vmcnt(0)
	v_and_b32_e32 v24, 0xf0f0f0f, v244
	v_or3_b32 v24, v25, v246, v24
	v_lshrrev_b32_e32 v25, 4, v28
	v_ashrrev_i32_e32 v28, v231, v243
	v_ashrrev_i32_e32 v243, v232, v243
	v_and_b32_e32 v25, 0xf0f0f0f, v25
	v_lshlrev_b32_e32 v245, 4, v28
	v_lshlrev_b32_e32 v246, 11, v28
	;; [unrolled: 1-line block ×4, first 2 shown]
	v_and_b32_e32 v245, 16, v245
	v_and_b32_e32 v246, 0x1000, v246
	;; [unrolled: 1-line block ×4, first 2 shown]
	v_or3_b32 v25, v28, v25, v247
	v_lshrrev_b32_e32 v28, 4, v244
	v_lshlrev_b32_e32 v244, 4, v243
	v_or3_b32 v25, v25, v245, v246
	v_lshlrev_b32_e32 v245, 11, v243
	v_lshlrev_b32_e32 v246, 18, v243
	;; [unrolled: 1-line block ×3, first 2 shown]
	v_and_b32_e32 v244, 16, v244
	v_and_b32_e32 v28, 0xf0f0f0f, v28
	;; [unrolled: 1-line block ×5, first 2 shown]
	v_or3_b32 v243, v246, v243, v244
	v_mov_b32_e32 v246, 0
	v_mul_f32_e32 v244, v2, v33
	v_or3_b32 v243, v243, v245, v28
	v_mov_b32_e32 v28, 0
	v_mul_f32_e32 v245, v3, v32
	v_dot4c_i32_i8 v246, v30, v39
	v_dot4c_i32_i8 v28, v29, v38
	v_mul_f32_e32 v245, 0x3e000000, v245
	v_cvt_f32_i32_e32 v246, v246
	v_cvt_f32_i32_e32 v28, v28
	v_fma_f32 v246, v244, v246, v245
	v_fma_f32 v28, v244, v28, v245
	v_add_f32_e32 v28, 0, v28
	v_add_f32_e32 v28, v28, v246
	v_mov_b32_e32 v246, 0
	v_dot4c_i32_i8 v246, v31, v40
	v_cvt_f32_i32_e32 v246, v246
	v_fma_f32 v246, v244, v246, v245
	v_add_f32_e32 v28, v246, v28
	v_mov_b32_e32 v246, 0
	v_dot4c_i32_i8 v246, v34, v41
	v_cvt_f32_i32_e32 v246, v246
	v_fmac_f32_e32 v245, v244, v246
	v_mov_b32_e32 v244, 0
	v_mul_f32_e32 v246, v5, v71
	v_add_f32_e32 v28, v28, v245
	v_dot4c_i32_i8 v244, v35, v42
	v_mul_f32_e32 v245, v4, v235
	v_mul_f32_e32 v246, 0x3e000000, v246
	v_cvt_f32_i32_e32 v244, v244
	v_fma_f32 v244, v245, v244, v246
	v_add_f32_e32 v28, v28, v244
	v_mov_b32_e32 v244, 0
	v_dot4c_i32_i8 v244, v36, v43
	v_cvt_f32_i32_e32 v244, v244
	v_fma_f32 v244, v245, v244, v246
	v_add_f32_e32 v28, v28, v244
	v_mov_b32_e32 v244, 0
	v_dot4c_i32_i8 v244, v37, v44
	;; [unrolled: 5-line block ×3, first 2 shown]
	v_cvt_f32_i32_e32 v244, v244
	v_fmac_f32_e32 v246, v245, v244
	v_mov_b32_e32 v244, 0
	v_mul_f32_e32 v245, v6, v239
	v_add_f32_e32 v28, v28, v246
	v_dot4c_i32_i8 v244, v236, v46
	v_mul_f32_e32 v246, v7, v238
	v_cvt_f32_i32_e32 v244, v244
	v_mul_f32_e32 v246, 0x3e000000, v246
	v_fma_f32 v244, v245, v244, v246
	v_add_f32_e32 v28, v28, v244
	v_mov_b32_e32 v244, 0
	v_dot4c_i32_i8 v244, v237, v47
	v_cvt_f32_i32_e32 v244, v244
	v_fma_f32 v244, v245, v244, v246
	v_add_f32_e32 v28, v28, v244
	v_mov_b32_e32 v244, 0
	v_dot4c_i32_i8 v244, v240, v48
	v_cvt_f32_i32_e32 v244, v244
	;; [unrolled: 5-line block ×3, first 2 shown]
	v_fmac_f32_e32 v246, v245, v244
	v_mov_b32_e32 v244, 0
	v_mul_f32_e32 v245, v8, v22
	v_add_f32_e32 v28, v28, v246
	v_dot4c_i32_i8 v244, v23, v50
	v_mul_f32_e32 v246, v9, v242
	v_cvt_f32_i32_e32 v244, v244
	v_mul_f32_e32 v246, 0x3e000000, v246
	v_fma_f32 v244, v245, v244, v246
	v_add_f32_e32 v28, v28, v244
	v_mov_b32_e32 v244, 0
	v_dot4c_i32_i8 v244, v24, v51
	v_cvt_f32_i32_e32 v244, v244
	v_fma_f32 v244, v245, v244, v246
	v_add_f32_e32 v28, v28, v244
	v_mov_b32_e32 v244, 0
	v_dot4c_i32_i8 v244, v25, v52
	v_cvt_f32_i32_e32 v244, v244
	v_fma_f32 v244, v245, v244, v246
	v_add_f32_e32 v28, v244, v28
	v_mov_b32_e32 v244, 0
	v_dot4c_i32_i8 v244, v243, v53
	v_cvt_f32_i32_e32 v244, v244
	v_fmac_f32_e32 v246, v245, v244
	v_add_f32_e32 v28, v28, v246
	ds_bpermute_b32 v244, v84, v28
	s_waitcnt lgkmcnt(0)
	v_add_f32_e32 v28, v28, v244
	s_cbranch_vccz .LBB19_19
; %bb.18:                               ;   in Loop: Header=BB19_17 Depth=1
	v_add_co_u32 v244, vcc_lo, v92, s11
	v_add_co_ci_u32_e64 v245, null, s13, v93, vcc_lo
	global_load_ushort v244, v[244:245], off offset:-2
	s_waitcnt vmcnt(0)
	v_fma_mix_f32 v28, v77, v244, v28 op_sel_hi:[0,1,0]
.LBB19_19:                              ;   in Loop: Header=BB19_17 Depth=1
	v_mov_b32_e32 v244, 0
	v_mul_f32_e32 v32, v11, v32
	v_mov_b32_e32 v245, 0
	v_mul_f32_e32 v33, v10, v33
	v_mov_b32_e32 v246, 0
	v_dot4c_i32_i8 v244, v29, v54
	v_mul_f32_e32 v32, 0x3e000000, v32
	v_dot4c_i32_i8 v245, v30, v55
	v_mov_b32_e32 v29, 0
	v_dot4c_i32_i8 v246, v31, v56
	v_cvt_f32_i32_e32 v30, v244
	v_mov_b32_e32 v247, 0
	v_cvt_f32_i32_e32 v31, v245
	v_dot4c_i32_i8 v29, v34, v57
	v_cvt_f32_i32_e32 v34, v246
	v_fma_f32 v30, v33, v30, v32
	v_mul_f32_e32 v71, v13, v71
	v_fma_f32 v31, v33, v31, v32
	v_mov_b32_e32 v244, 0
	v_dot4c_i32_i8 v247, v35, v58
	v_add_f32_e32 v30, 0, v30
	v_cvt_f32_i32_e32 v29, v29
	v_fma_f32 v34, v33, v34, v32
	v_mul_f32_e32 v235, v12, v235
	v_mov_b32_e32 v245, 0
	v_add_f32_e32 v30, v30, v31
	v_mul_f32_e32 v31, 0x3e000000, v71
	v_dot4c_i32_i8 v244, v36, v59
	v_cvt_f32_i32_e32 v35, v247
	v_fmac_f32_e32 v32, v33, v29
	v_add_f32_e32 v29, v34, v30
	v_mov_b32_e32 v30, 0
	v_dot4c_i32_i8 v245, v37, v60
	v_cvt_f32_i32_e32 v33, v244
	v_fma_f32 v34, v235, v35, v31
	v_add_f32_e32 v29, v29, v32
	v_mov_b32_e32 v32, 0
	v_dot4c_i32_i8 v30, v70, v61
	v_cvt_f32_i32_e32 v35, v245
	v_fma_f32 v33, v235, v33, v31
	v_add_f32_e32 v29, v29, v34
	v_mul_f32_e32 v36, v15, v238
	v_cvt_f32_i32_e32 v30, v30
	v_fma_f32 v35, v235, v35, v31
	v_dot4c_i32_i8 v32, v236, v62
	v_add_f32_e32 v29, v29, v33
	v_mov_b32_e32 v33, 0
	v_mul_f32_e32 v34, v14, v239
	v_mov_b32_e32 v37, 0
	v_fmac_f32_e32 v31, v235, v30
	v_add_f32_e32 v29, v35, v29
	v_cvt_f32_i32_e32 v30, v32
	v_mul_f32_e32 v32, 0x3e000000, v36
	v_dot4c_i32_i8 v33, v237, v63
	v_dot4c_i32_i8 v37, v240, v64
	v_add_f32_e32 v29, v29, v31
	v_mul_f32_e32 v22, v16, v22
	v_fma_f32 v30, v34, v30, v32
	v_cvt_f32_i32_e32 v31, v33
	v_mov_b32_e32 v33, 0
	v_cvt_f32_i32_e32 v35, v37
	s_andn2_b32 vcc_lo, exec_lo, s39
	v_add_f32_e32 v29, v29, v30
	v_fma_f32 v30, v34, v31, v32
	v_dot4c_i32_i8 v33, v241, v65
	v_mov_b32_e32 v31, 0
	v_fma_f32 v35, v34, v35, v32
	v_add_f32_e32 v29, v29, v30
	v_cvt_f32_i32_e32 v30, v33
	v_mul_f32_e32 v33, v17, v242
	v_dot4c_i32_i8 v31, v23, v66
	v_mov_b32_e32 v23, 0
	v_add_f32_e32 v29, v35, v29
	v_fmac_f32_e32 v32, v34, v30
	v_cvt_f32_i32_e32 v30, v31
	v_mul_f32_e32 v31, 0x3e000000, v33
	v_dot4c_i32_i8 v23, v24, v67
	v_mov_b32_e32 v24, 0
	v_add_f32_e32 v29, v29, v32
	v_fma_f32 v30, v22, v30, v31
	v_cvt_f32_i32_e32 v23, v23
	v_dot4c_i32_i8 v24, v25, v68
	v_mov_b32_e32 v25, 0
	v_add_f32_e32 v29, v29, v30
	v_fma_f32 v23, v22, v23, v31
	v_cvt_f32_i32_e32 v24, v24
	v_dot4c_i32_i8 v25, v243, v69
	v_add_f32_e32 v23, v29, v23
	v_fma_f32 v24, v22, v24, v31
	v_cvt_f32_i32_e32 v25, v25
	v_add_f32_e32 v23, v24, v23
	v_fmac_f32_e32 v31, v22, v25
	v_add_f32_e32 v22, v23, v31
	ds_bpermute_b32 v23, v84, v22
	s_waitcnt lgkmcnt(0)
	v_add_f32_e32 v29, v22, v23
	s_cbranch_vccnz .LBB19_21
; %bb.20:                               ;   in Loop: Header=BB19_17 Depth=1
	v_add_co_u32 v22, vcc_lo, v80, s11
	v_add_co_ci_u32_e64 v23, null, s13, v81, vcc_lo
	global_load_ushort v22, v[22:23], off
	s_waitcnt vmcnt(0)
	v_fma_mix_f32 v29, v77, v22, v29 op_sel_hi:[0,1,0]
.LBB19_21:                              ;   in Loop: Header=BB19_17 Depth=1
	v_add_co_u32 v24, vcc_lo, v100, s3
	v_add_co_ci_u32_e64 v25, null, 0, v101, vcc_lo
	v_add_co_u32 v22, vcc_lo, v90, s3
	v_add_co_ci_u32_e64 v23, null, 0, v91, vcc_lo
	global_load_dwordx2 v[35:36], v[24:25], off
	s_andn2_b32 vcc_lo, exec_lo, s35
	s_clause 0x2
	global_load_dword v32, v[22:23], off offset:8
	global_load_dword v237, v[22:23], off offset:32
	;; [unrolled: 1-line block ×3, first 2 shown]
	s_waitcnt vmcnt(3)
	v_ashrrev_i32_e32 v31, v79, v36
	s_waitcnt vmcnt(2)
	v_and_b32_e32 v30, 0xf0f0f0f, v32
	v_lshrrev_b32_e32 v32, 4, v32
	v_lshlrev_b32_e32 v33, 4, v31
	v_lshlrev_b32_e32 v34, 11, v31
	;; [unrolled: 1-line block ×4, first 2 shown]
	v_and_b32_e32 v32, 0xf0f0f0f, v32
	v_and_b32_e32 v33, 16, v33
	;; [unrolled: 1-line block ×5, first 2 shown]
	v_or3_b32 v30, v31, v30, v37
	v_ashrrev_i32_e32 v37, v230, v36
	v_or3_b32 v30, v30, v33, v34
	v_cvt_f32_f16_e32 v34, v35
	v_cvt_f32_f16_sdwa v33, v35 dst_sel:DWORD dst_unused:UNUSED_PAD src0_sel:WORD_1
	global_load_dword v35, v[22:23], off offset:16
	v_lshlrev_b32_e32 v70, 4, v37
	v_lshlrev_b32_e32 v71, 11, v37
	;; [unrolled: 1-line block ×4, first 2 shown]
	v_and_b32_e32 v70, 16, v70
	v_and_b32_e32 v71, 0x1000, v71
	;; [unrolled: 1-line block ×4, first 2 shown]
	v_or3_b32 v37, v235, v37, v70
	s_waitcnt vmcnt(0)
	v_and_b32_e32 v31, 0xf0f0f0f, v35
	v_lshrrev_b32_e32 v35, 4, v35
	v_or3_b32 v31, v37, v71, v31
	v_ashrrev_i32_e32 v37, v231, v36
	v_ashrrev_i32_e32 v36, v232, v36
	v_and_b32_e32 v35, 0xf0f0f0f, v35
	v_lshlrev_b32_e32 v70, 4, v37
	v_lshlrev_b32_e32 v71, 11, v37
	;; [unrolled: 1-line block ×4, first 2 shown]
	v_and_b32_e32 v70, 16, v70
	v_and_b32_e32 v71, 0x1000, v71
	;; [unrolled: 1-line block ×4, first 2 shown]
	v_or3_b32 v32, v37, v32, v235
	v_lshlrev_b32_e32 v37, 4, v36
	v_or3_b32 v32, v32, v70, v71
	v_lshlrev_b32_e32 v70, 11, v36
	v_lshlrev_b32_e32 v71, 18, v36
	;; [unrolled: 1-line block ×3, first 2 shown]
	v_and_b32_e32 v37, 16, v37
	v_and_b32_e32 v70, 0x1000, v70
	;; [unrolled: 1-line block ×4, first 2 shown]
	v_or3_b32 v36, v71, v36, v37
	v_or3_b32 v35, v36, v70, v35
	global_load_dwordx2 v[70:71], v[24:25], off offset:24
	v_and_b32_e32 v36, 0xf0f0f0f, v237
	s_waitcnt vmcnt(0)
	v_ashrrev_i32_e32 v37, v79, v71
	v_lshlrev_b32_e32 v235, 4, v37
	v_lshlrev_b32_e32 v236, 11, v37
	;; [unrolled: 1-line block ×4, first 2 shown]
	v_and_b32_e32 v235, 16, v235
	v_and_b32_e32 v236, 0x1000, v236
	;; [unrolled: 1-line block ×4, first 2 shown]
	v_or3_b32 v36, v37, v36, v238
	global_load_dword v238, v[22:23], off offset:40
	v_or3_b32 v36, v36, v235, v236
	v_cvt_f32_f16_e32 v236, v70
	v_cvt_f32_f16_sdwa v235, v70 dst_sel:DWORD dst_unused:UNUSED_PAD src0_sel:WORD_1
	v_ashrrev_i32_e32 v70, v230, v71
	v_lshlrev_b32_e32 v239, 4, v70
	v_lshlrev_b32_e32 v240, 11, v70
	;; [unrolled: 1-line block ×4, first 2 shown]
	v_and_b32_e32 v239, 16, v239
	v_and_b32_e32 v240, 0x1000, v240
	;; [unrolled: 1-line block ×4, first 2 shown]
	v_or3_b32 v70, v241, v70, v239
	s_waitcnt vmcnt(0)
	v_and_b32_e32 v37, 0xf0f0f0f, v238
	v_or3_b32 v37, v70, v240, v37
	v_lshrrev_b32_e32 v70, 4, v237
	v_ashrrev_i32_e32 v237, v231, v71
	v_ashrrev_i32_e32 v71, v232, v71
	v_and_b32_e32 v70, 0xf0f0f0f, v70
	v_lshlrev_b32_e32 v239, 4, v237
	v_lshlrev_b32_e32 v240, 11, v237
	;; [unrolled: 1-line block ×4, first 2 shown]
	v_and_b32_e32 v239, 16, v239
	v_and_b32_e32 v240, 0x1000, v240
	;; [unrolled: 1-line block ×4, first 2 shown]
	v_or3_b32 v70, v237, v70, v241
	global_load_dwordx2 v[241:242], v[24:25], off offset:48
	v_lshrrev_b32_e32 v237, 4, v238
	v_lshlrev_b32_e32 v238, 4, v71
	v_or3_b32 v70, v70, v239, v240
	v_lshlrev_b32_e32 v239, 11, v71
	v_lshlrev_b32_e32 v240, 18, v71
	;; [unrolled: 1-line block ×3, first 2 shown]
	v_and_b32_e32 v238, 16, v238
	v_and_b32_e32 v237, 0xf0f0f0f, v237
	;; [unrolled: 1-line block ×5, first 2 shown]
	v_or3_b32 v71, v240, v71, v238
	v_or3_b32 v71, v71, v239, v237
	v_and_b32_e32 v237, 0xf0f0f0f, v243
	s_waitcnt vmcnt(0)
	v_ashrrev_i32_e32 v238, v79, v242
	v_lshlrev_b32_e32 v239, 4, v238
	v_lshlrev_b32_e32 v240, 11, v238
	;; [unrolled: 1-line block ×4, first 2 shown]
	v_and_b32_e32 v239, 16, v239
	v_and_b32_e32 v240, 0x1000, v240
	;; [unrolled: 1-line block ×4, first 2 shown]
	v_or3_b32 v237, v238, v237, v244
	global_load_dword v244, v[22:23], off offset:64
	v_or3_b32 v237, v237, v239, v240
	v_cvt_f32_f16_e32 v240, v241
	v_cvt_f32_f16_sdwa v239, v241 dst_sel:DWORD dst_unused:UNUSED_PAD src0_sel:WORD_1
	v_ashrrev_i32_e32 v241, v230, v242
	v_lshlrev_b32_e32 v245, 4, v241
	v_lshlrev_b32_e32 v246, 11, v241
	;; [unrolled: 1-line block ×4, first 2 shown]
	v_and_b32_e32 v245, 16, v245
	v_and_b32_e32 v246, 0x1000, v246
	v_and_b32_e32 v247, 0x100000, v247
	v_and_b32_e32 v241, 0x10000000, v241
	v_or3_b32 v241, v247, v241, v245
	s_waitcnt vmcnt(0)
	v_and_b32_e32 v238, 0xf0f0f0f, v244
	v_or3_b32 v238, v241, v246, v238
	v_lshrrev_b32_e32 v241, 4, v243
	v_ashrrev_i32_e32 v243, v231, v242
	v_ashrrev_i32_e32 v242, v232, v242
	v_and_b32_e32 v241, 0xf0f0f0f, v241
	v_lshlrev_b32_e32 v245, 4, v243
	v_lshlrev_b32_e32 v246, 11, v243
	;; [unrolled: 1-line block ×4, first 2 shown]
	v_and_b32_e32 v245, 16, v245
	v_and_b32_e32 v246, 0x1000, v246
	;; [unrolled: 1-line block ×4, first 2 shown]
	v_or3_b32 v241, v243, v241, v247
	v_lshrrev_b32_e32 v243, 4, v244
	v_lshlrev_b32_e32 v244, 4, v242
	v_or3_b32 v241, v241, v245, v246
	v_lshlrev_b32_e32 v245, 11, v242
	v_lshlrev_b32_e32 v246, 18, v242
	;; [unrolled: 1-line block ×3, first 2 shown]
	v_and_b32_e32 v244, 16, v244
	v_and_b32_e32 v243, 0xf0f0f0f, v243
	;; [unrolled: 1-line block ×5, first 2 shown]
	v_or3_b32 v242, v246, v242, v244
	v_or3_b32 v242, v242, v245, v243
	global_load_dwordx2 v[243:244], v[24:25], off offset:72
	global_load_dword v245, v[22:23], off offset:80
	s_waitcnt vmcnt(1)
	v_ashrrev_i32_e32 v24, v79, v244
	s_waitcnt vmcnt(0)
	v_and_b32_e32 v246, 0xf0f0f0f, v245
	v_lshlrev_b32_e32 v25, 4, v24
	v_lshlrev_b32_e32 v247, 11, v24
	;; [unrolled: 1-line block ×4, first 2 shown]
	v_and_b32_e32 v25, 16, v25
	v_and_b32_e32 v247, 0x1000, v247
	;; [unrolled: 1-line block ×4, first 2 shown]
	v_or3_b32 v24, v24, v246, v248
	global_load_dword v246, v[22:23], off offset:88
	v_ashrrev_i32_e32 v23, v230, v244
	v_or3_b32 v25, v24, v25, v247
	v_cvt_f32_f16_e32 v24, v243
	v_lshlrev_b32_e32 v247, 4, v23
	v_lshlrev_b32_e32 v248, 11, v23
	v_lshlrev_b32_e32 v249, 18, v23
	v_lshlrev_b32_e32 v23, 25, v23
	v_cvt_f32_f16_sdwa v243, v243 dst_sel:DWORD dst_unused:UNUSED_PAD src0_sel:WORD_1
	v_and_b32_e32 v247, 16, v247
	v_and_b32_e32 v248, 0x1000, v248
	;; [unrolled: 1-line block ×4, first 2 shown]
	v_or3_b32 v23, v249, v23, v247
	s_waitcnt vmcnt(0)
	v_and_b32_e32 v22, 0xf0f0f0f, v246
	v_or3_b32 v22, v23, v248, v22
	v_lshrrev_b32_e32 v23, 4, v245
	v_ashrrev_i32_e32 v245, v231, v244
	v_ashrrev_i32_e32 v244, v232, v244
	v_and_b32_e32 v23, 0xf0f0f0f, v23
	v_lshlrev_b32_e32 v247, 4, v245
	v_lshlrev_b32_e32 v248, 11, v245
	;; [unrolled: 1-line block ×4, first 2 shown]
	v_and_b32_e32 v247, 16, v247
	v_and_b32_e32 v248, 0x1000, v248
	;; [unrolled: 1-line block ×4, first 2 shown]
	v_or3_b32 v23, v245, v23, v249
	v_lshrrev_b32_e32 v245, 4, v246
	v_lshlrev_b32_e32 v246, 4, v244
	v_or3_b32 v23, v23, v247, v248
	v_lshlrev_b32_e32 v247, 11, v244
	v_lshlrev_b32_e32 v248, 18, v244
	;; [unrolled: 1-line block ×3, first 2 shown]
	v_and_b32_e32 v246, 16, v246
	v_and_b32_e32 v245, 0xf0f0f0f, v245
	;; [unrolled: 1-line block ×5, first 2 shown]
	v_or3_b32 v244, v248, v244, v246
	v_mov_b32_e32 v248, 0
	v_mul_f32_e32 v246, v2, v34
	v_or3_b32 v244, v244, v247, v245
	v_mov_b32_e32 v245, 0
	v_mul_f32_e32 v247, v3, v33
	v_dot4c_i32_i8 v248, v31, v39
	v_dot4c_i32_i8 v245, v30, v38
	v_mul_f32_e32 v247, 0x3e000000, v247
	v_cvt_f32_i32_e32 v248, v248
	v_cvt_f32_i32_e32 v245, v245
	v_fma_f32 v248, v246, v248, v247
	v_fma_f32 v245, v246, v245, v247
	v_add_f32_e32 v245, 0, v245
	v_add_f32_e32 v245, v245, v248
	v_mov_b32_e32 v248, 0
	v_dot4c_i32_i8 v248, v32, v40
	v_cvt_f32_i32_e32 v248, v248
	v_fma_f32 v248, v246, v248, v247
	v_add_f32_e32 v245, v248, v245
	v_mov_b32_e32 v248, 0
	v_dot4c_i32_i8 v248, v35, v41
	v_cvt_f32_i32_e32 v248, v248
	v_fmac_f32_e32 v247, v246, v248
	v_mov_b32_e32 v246, 0
	v_mul_f32_e32 v248, v5, v235
	v_add_f32_e32 v245, v245, v247
	v_dot4c_i32_i8 v246, v36, v42
	v_mul_f32_e32 v247, v4, v236
	v_mul_f32_e32 v248, 0x3e000000, v248
	v_cvt_f32_i32_e32 v246, v246
	v_fma_f32 v246, v247, v246, v248
	v_add_f32_e32 v245, v245, v246
	v_mov_b32_e32 v246, 0
	v_dot4c_i32_i8 v246, v37, v43
	v_cvt_f32_i32_e32 v246, v246
	v_fma_f32 v246, v247, v246, v248
	v_add_f32_e32 v245, v245, v246
	v_mov_b32_e32 v246, 0
	v_dot4c_i32_i8 v246, v70, v44
	;; [unrolled: 5-line block ×3, first 2 shown]
	v_cvt_f32_i32_e32 v246, v246
	v_fmac_f32_e32 v248, v247, v246
	v_mov_b32_e32 v246, 0
	v_mul_f32_e32 v247, v6, v240
	v_add_f32_e32 v245, v245, v248
	v_dot4c_i32_i8 v246, v237, v46
	v_mul_f32_e32 v248, v7, v239
	v_cvt_f32_i32_e32 v246, v246
	v_mul_f32_e32 v248, 0x3e000000, v248
	v_fma_f32 v246, v247, v246, v248
	v_add_f32_e32 v245, v245, v246
	v_mov_b32_e32 v246, 0
	v_dot4c_i32_i8 v246, v238, v47
	v_cvt_f32_i32_e32 v246, v246
	v_fma_f32 v246, v247, v246, v248
	v_add_f32_e32 v245, v245, v246
	v_mov_b32_e32 v246, 0
	v_dot4c_i32_i8 v246, v241, v48
	v_cvt_f32_i32_e32 v246, v246
	;; [unrolled: 5-line block ×3, first 2 shown]
	v_fmac_f32_e32 v248, v247, v246
	v_mov_b32_e32 v246, 0
	v_mul_f32_e32 v247, v8, v24
	v_add_f32_e32 v245, v245, v248
	v_dot4c_i32_i8 v246, v25, v50
	v_mul_f32_e32 v248, v9, v243
	v_cvt_f32_i32_e32 v246, v246
	v_mul_f32_e32 v248, 0x3e000000, v248
	v_fma_f32 v246, v247, v246, v248
	v_add_f32_e32 v245, v245, v246
	v_mov_b32_e32 v246, 0
	v_dot4c_i32_i8 v246, v22, v51
	v_cvt_f32_i32_e32 v246, v246
	v_fma_f32 v246, v247, v246, v248
	v_add_f32_e32 v245, v245, v246
	v_mov_b32_e32 v246, 0
	v_dot4c_i32_i8 v246, v23, v52
	v_cvt_f32_i32_e32 v246, v246
	;; [unrolled: 5-line block ×3, first 2 shown]
	v_fmac_f32_e32 v248, v247, v246
	v_add_f32_e32 v245, v245, v248
	ds_bpermute_b32 v246, v84, v245
	s_waitcnt lgkmcnt(0)
	v_add_f32_e32 v245, v245, v246
	s_cbranch_vccnz .LBB19_23
; %bb.22:                               ;   in Loop: Header=BB19_17 Depth=1
	v_add_co_u32 v246, vcc_lo, v92, s11
	v_add_co_ci_u32_e64 v247, null, s13, v93, vcc_lo
	global_load_ushort v246, v[246:247], off
	s_waitcnt vmcnt(0)
	v_fma_mix_f32 v245, v77, v246, v245 op_sel_hi:[0,1,0]
.LBB19_23:                              ;   in Loop: Header=BB19_17 Depth=1
	v_mov_b32_e32 v246, 0
	v_mul_f32_e32 v33, v11, v33
	v_mov_b32_e32 v247, 0
	v_mul_f32_e32 v34, v10, v34
	v_mov_b32_e32 v248, 0
	v_dot4c_i32_i8 v246, v30, v54
	v_mul_f32_e32 v33, 0x3e000000, v33
	v_dot4c_i32_i8 v247, v31, v55
	v_mov_b32_e32 v30, 0
	v_dot4c_i32_i8 v248, v32, v56
	v_cvt_f32_i32_e32 v31, v246
	v_mov_b32_e32 v249, 0
	v_cvt_f32_i32_e32 v32, v247
	v_dot4c_i32_i8 v30, v35, v57
	v_cvt_f32_i32_e32 v35, v248
	v_fma_f32 v31, v34, v31, v33
	v_mul_f32_e32 v235, v13, v235
	v_fma_f32 v32, v34, v32, v33
	v_mov_b32_e32 v246, 0
	v_dot4c_i32_i8 v249, v36, v58
	v_add_f32_e32 v31, 0, v31
	v_cvt_f32_i32_e32 v30, v30
	v_fma_f32 v35, v34, v35, v33
	v_mul_f32_e32 v236, v12, v236
	v_mov_b32_e32 v247, 0
	v_add_f32_e32 v31, v31, v32
	v_mul_f32_e32 v32, 0x3e000000, v235
	v_dot4c_i32_i8 v246, v37, v59
	v_cvt_f32_i32_e32 v36, v249
	v_fmac_f32_e32 v33, v34, v30
	v_add_f32_e32 v30, v35, v31
	v_mov_b32_e32 v31, 0
	v_dot4c_i32_i8 v247, v70, v60
	v_cvt_f32_i32_e32 v34, v246
	v_fma_f32 v35, v236, v36, v32
	v_add_f32_e32 v30, v30, v33
	v_mov_b32_e32 v33, 0
	v_dot4c_i32_i8 v31, v71, v61
	v_cvt_f32_i32_e32 v36, v247
	v_fma_f32 v34, v236, v34, v32
	v_add_f32_e32 v30, v30, v35
	v_mul_f32_e32 v37, v15, v239
	v_cvt_f32_i32_e32 v31, v31
	v_fma_f32 v36, v236, v36, v32
	v_dot4c_i32_i8 v33, v237, v62
	v_add_f32_e32 v30, v30, v34
	v_mov_b32_e32 v34, 0
	v_mul_f32_e32 v35, v14, v240
	v_mov_b32_e32 v70, 0
	v_fmac_f32_e32 v32, v236, v31
	v_add_f32_e32 v30, v36, v30
	v_cvt_f32_i32_e32 v31, v33
	v_mul_f32_e32 v33, 0x3e000000, v37
	v_dot4c_i32_i8 v34, v238, v63
	v_dot4c_i32_i8 v70, v241, v64
	v_add_f32_e32 v30, v30, v32
	v_mul_f32_e32 v24, v16, v24
	v_fma_f32 v31, v35, v31, v33
	v_cvt_f32_i32_e32 v32, v34
	v_mov_b32_e32 v34, 0
	v_cvt_f32_i32_e32 v36, v70
	s_andn2_b32 vcc_lo, exec_lo, s39
	v_add_f32_e32 v30, v30, v31
	v_fma_f32 v31, v35, v32, v33
	v_dot4c_i32_i8 v34, v242, v65
	v_mov_b32_e32 v32, 0
	v_fma_f32 v36, v35, v36, v33
	v_add_f32_e32 v30, v30, v31
	v_cvt_f32_i32_e32 v31, v34
	v_mul_f32_e32 v34, v17, v243
	v_dot4c_i32_i8 v32, v25, v66
	v_mov_b32_e32 v25, 0
	v_add_f32_e32 v30, v36, v30
	v_fmac_f32_e32 v33, v35, v31
	v_cvt_f32_i32_e32 v31, v32
	v_mul_f32_e32 v32, 0x3e000000, v34
	v_dot4c_i32_i8 v25, v22, v67
	v_mov_b32_e32 v22, 0
	v_add_f32_e32 v30, v30, v33
	v_fma_f32 v31, v24, v31, v32
	v_cvt_f32_i32_e32 v25, v25
	v_dot4c_i32_i8 v22, v23, v68
	v_mov_b32_e32 v23, 0
	v_add_f32_e32 v30, v30, v31
	v_fma_f32 v25, v24, v25, v32
	v_cvt_f32_i32_e32 v22, v22
	v_dot4c_i32_i8 v23, v244, v69
	v_add_f32_e32 v25, v30, v25
	v_fma_f32 v22, v24, v22, v32
	v_cvt_f32_i32_e32 v23, v23
	v_add_f32_e32 v22, v22, v25
	v_fmac_f32_e32 v32, v24, v23
	v_add_f32_e32 v22, v22, v32
	ds_bpermute_b32 v23, v84, v22
	s_waitcnt lgkmcnt(0)
	v_add_f32_e32 v22, v22, v23
	s_cbranch_vccnz .LBB19_25
; %bb.24:                               ;   in Loop: Header=BB19_17 Depth=1
	v_add_co_u32 v23, vcc_lo, v94, s11
	v_add_co_ci_u32_e64 v24, null, s13, v95, vcc_lo
	global_load_ushort v23, v[23:24], off
	s_waitcnt vmcnt(0)
	v_fma_mix_f32 v22, v77, v23, v22 op_sel_hi:[0,1,0]
.LBB19_25:                              ;   in Loop: Header=BB19_17 Depth=1
	v_add_f32_e32 v24, 0x40051340, v28
	v_add_f32_e32 v25, 0x40051340, v245
	v_cndmask_b32_e64 v23, v234, v28, s1
	v_add_f32_e32 v28, 0x40051340, v22
	v_cndmask_b32_e64 v22, v22, v29, s1
	s_add_i32 s2, s2, s4
	v_max3_f32 v24, v27, v24, v25
	v_add_f32_e32 v25, 0x40051340, v29
	v_cndmask_b32_e64 v23, v245, v23, s1
	s_cmp_ge_i32 s2, s31
	v_max3_f32 v25, v26, v25, v28
	ds_bpermute_b32 v28, v85, v24
	s_waitcnt lgkmcnt(0)
	v_max_f32_e32 v28, v28, v28
	v_max_f32_e32 v24, v24, v28
	ds_bpermute_b32 v28, v86, v24
	s_waitcnt lgkmcnt(0)
	v_max_f32_e32 v28, v28, v28
	v_max_f32_e32 v24, v24, v28
	;; [unrolled: 4-line block ×4, first 2 shown]
	v_sub_f32_e32 v24, v27, v70
	v_sub_f32_e32 v23, v23, v70
	v_mul_f32_e32 v27, 0x3fb8aa3b, v24
	v_cmp_ngt_f32_e32 vcc_lo, 0xc2ce8ed0, v24
	v_fma_f32 v28, 0x3fb8aa3b, v24, -v27
	v_rndne_f32_e32 v29, v27
	v_fmac_f32_e32 v28, 0x32a5705f, v24
	v_sub_f32_e32 v27, v27, v29
	v_add_f32_e32 v27, v27, v28
	v_cvt_i32_f32_e32 v28, v29
	v_exp_f32_e32 v27, v27
	v_ldexp_f32 v27, v27, v28
	v_cndmask_b32_e32 v27, 0, v27, vcc_lo
	v_cmp_nlt_f32_e32 vcc_lo, 0x42b17218, v24
	v_cndmask_b32_e32 v24, 0x7f800000, v27, vcc_lo
	v_mul_f32_e32 v27, 0x3fb8aa3b, v23
	v_cmp_ngt_f32_e32 vcc_lo, 0xc2ce8ed0, v23
	v_fma_f32 v28, 0x3fb8aa3b, v23, -v27
	v_rndne_f32_e32 v29, v27
	v_fmac_f32_e32 v28, 0x32a5705f, v23
	v_sub_f32_e32 v27, v27, v29
	v_add_f32_e32 v27, v27, v28
	v_cvt_i32_f32_e32 v28, v29
	v_exp_f32_e32 v27, v27
	v_ldexp_f32 v27, v27, v28
	v_cndmask_b32_e32 v27, 0, v27, vcc_lo
	v_cmp_nlt_f32_e32 vcc_lo, 0x42b17218, v23
	v_cndmask_b32_e32 v234, 0x7f800000, v27, vcc_lo
	v_cvt_f16_f32_e32 v23, v234
	v_fma_f32 v83, v83, v24, v234
	ds_write_b16 v75, v23
	v_cvt_f16_f32_e32 v23, v24
	v_mul_u32_u24_sdwa v23, v23, v233 dst_sel:DWORD dst_unused:UNUSED_PAD src0_sel:WORD_0 src1_sel:DWORD
	v_pk_mul_f16 v239, v18, v23
	ds_bpermute_b32 v18, v85, v25
	v_pk_mul_f16 v240, v19, v23
	s_waitcnt lgkmcnt(0)
	v_max_f32_e32 v18, v18, v18
	v_max_f32_e32 v18, v25, v18
	ds_bpermute_b32 v19, v86, v18
	s_waitcnt lgkmcnt(0)
	v_max_f32_e32 v19, v19, v19
	v_max_f32_e32 v18, v18, v19
	ds_bpermute_b32 v19, v87, v18
	;; [unrolled: 4-line block ×3, first 2 shown]
	s_waitcnt lgkmcnt(0)
	v_max_f32_e32 v19, v19, v19
	v_max_f32_e32 v71, v18, v19
	v_sub_f32_e32 v18, v26, v71
	v_mul_f32_e32 v19, 0x3fb8aa3b, v18
	v_cmp_ngt_f32_e32 vcc_lo, 0xc2ce8ed0, v18
	v_fma_f32 v23, 0x3fb8aa3b, v18, -v19
	v_rndne_f32_e32 v24, v19
	v_fmac_f32_e32 v23, 0x32a5705f, v18
	v_sub_f32_e32 v19, v19, v24
	v_add_f32_e32 v19, v19, v23
	v_cvt_i32_f32_e32 v23, v24
	v_exp_f32_e32 v19, v19
	v_ldexp_f32 v19, v19, v23
	v_cndmask_b32_e32 v19, 0, v19, vcc_lo
	v_cmp_nlt_f32_e32 vcc_lo, 0x42b17218, v18
	v_cndmask_b32_e32 v18, 0x7f800000, v19, vcc_lo
	v_sub_f32_e32 v19, v22, v71
	v_mul_f32_e32 v22, 0x3fb8aa3b, v19
	v_cmp_ngt_f32_e32 vcc_lo, 0xc2ce8ed0, v19
	v_fma_f32 v23, 0x3fb8aa3b, v19, -v22
	v_rndne_f32_e32 v24, v22
	v_fmac_f32_e32 v23, 0x32a5705f, v19
	v_sub_f32_e32 v22, v22, v24
	v_add_f32_e32 v22, v22, v23
	v_cvt_i32_f32_e32 v23, v24
	v_exp_f32_e32 v22, v22
	v_ldexp_f32 v22, v22, v23
	v_cndmask_b32_e32 v22, 0, v22, vcc_lo
	v_cmp_nlt_f32_e32 vcc_lo, 0x42b17218, v19
	v_cndmask_b32_e32 v19, 0x7f800000, v22, vcc_lo
	v_add_co_u32 v235, vcc_lo, v96, s28
	v_add_co_ci_u32_e64 v236, null, 0, v97, vcc_lo
	v_fma_f32 v82, v82, v18, v19
	v_cvt_f16_f32_e32 v18, v18
	v_add_co_u32 v237, vcc_lo, v98, s28
	v_cvt_f16_f32_e32 v19, v19
	v_add_co_ci_u32_e64 v238, null, 0, v99, vcc_lo
	v_mul_u32_u24_sdwa v18, v18, v233 dst_sel:DWORD dst_unused:UNUSED_PAD src0_sel:WORD_0 src1_sel:DWORD
	ds_write_b16 v75, v19 offset:256
	v_pk_mul_f16 v241, v20, v18
	v_pk_mul_f16 v242, v21, v18
	ds_read_b128 v[30:33], v89
	ds_read_b128 v[26:29], v89 offset:16
	ds_read_b128 v[22:25], v89 offset:32
	;; [unrolled: 1-line block ×3, first 2 shown]
	global_load_ushort v235, v[235:236], off
	global_load_dword v236, v[237:238], off offset:2
	ds_read_b128 v[34:37], v89 offset:256
	s_waitcnt lgkmcnt(4)
	v_mul_u32_u24_sdwa v243, v30, v233 dst_sel:DWORD dst_unused:UNUSED_PAD src0_sel:WORD_0 src1_sel:DWORD
	v_mul_u32_u24_sdwa v30, v30, v233 dst_sel:DWORD dst_unused:UNUSED_PAD src0_sel:WORD_1 src1_sel:DWORD
	s_waitcnt lgkmcnt(0)
	v_mul_u32_u24_sdwa v244, v34, v233 dst_sel:DWORD dst_unused:UNUSED_PAD src0_sel:WORD_0 src1_sel:DWORD
	v_mul_u32_u24_sdwa v34, v34, v233 dst_sel:DWORD dst_unused:UNUSED_PAD src0_sel:WORD_1 src1_sel:DWORD
	s_waitcnt vmcnt(1)
	v_mul_u32_u24_e32 v235, 0x10001, v235
	s_waitcnt vmcnt(0)
	v_pk_lshrrev_b16 v237, 8, v236 op_sel:[1,0] op_sel_hi:[0,0]
	v_pk_lshrrev_b16 v236, 8, v236 op_sel:[1,1] op_sel_hi:[0,1]
	v_lshrrev_b32_e32 v238, 16, v237
	v_cvt_f16_i16_sdwa v237, sext(v237) dst_sel:DWORD dst_unused:UNUSED_PAD src0_sel:BYTE_0
	v_cvt_f16_i16_sdwa v238, sext(v238) dst_sel:DWORD dst_unused:UNUSED_PAD src0_sel:BYTE_0
	v_pack_b32_f16 v237, v237, v238
	v_lshrrev_b32_e32 v238, 16, v236
	v_cvt_f16_i16_sdwa v236, sext(v236) dst_sel:DWORD dst_unused:UNUSED_PAD src0_sel:BYTE_0
	v_pk_mul_f16 v237, v237, v235
	v_cvt_f16_i16_sdwa v238, sext(v238) dst_sel:DWORD dst_unused:UNUSED_PAD src0_sel:BYTE_0
	v_pk_fma_f16 v239, v237, v243, v239
	v_pack_b32_f16 v236, v236, v238
	v_pk_fma_f16 v241, v237, v244, v241
	v_pk_mul_f16 v235, v236, v235
	v_pk_fma_f16 v240, v235, v243, v240
	v_pk_fma_f16 v242, v235, v244, v242
	v_add_co_u32 v235, vcc_lo, v104, s28
	v_add_co_ci_u32_e64 v236, null, 0, v105, vcc_lo
	v_add_co_u32 v237, vcc_lo, v106, s28
	v_add_co_ci_u32_e64 v238, null, 0, v107, vcc_lo
	global_load_ushort v235, v[235:236], off
	global_load_dword v236, v[237:238], off offset:2
	s_waitcnt vmcnt(1)
	v_mul_u32_u24_e32 v235, 0x10001, v235
	s_waitcnt vmcnt(0)
	v_pk_lshrrev_b16 v237, 8, v236 op_sel:[1,0] op_sel_hi:[0,0]
	v_pk_lshrrev_b16 v236, 8, v236 op_sel:[1,1] op_sel_hi:[0,1]
	v_lshrrev_b32_e32 v238, 16, v237
	v_cvt_f16_i16_sdwa v237, sext(v237) dst_sel:DWORD dst_unused:UNUSED_PAD src0_sel:BYTE_0
	v_cvt_f16_i16_sdwa v238, sext(v238) dst_sel:DWORD dst_unused:UNUSED_PAD src0_sel:BYTE_0
	v_pack_b32_f16 v237, v237, v238
	v_lshrrev_b32_e32 v238, 16, v236
	v_cvt_f16_i16_sdwa v236, sext(v236) dst_sel:DWORD dst_unused:UNUSED_PAD src0_sel:BYTE_0
	v_pk_mul_f16 v237, v237, v235
	v_cvt_f16_i16_sdwa v238, sext(v238) dst_sel:DWORD dst_unused:UNUSED_PAD src0_sel:BYTE_0
	v_pk_fma_f16 v239, v237, v30, v239
	v_pack_b32_f16 v236, v236, v238
	v_pk_fma_f16 v241, v237, v34, v241
	v_pk_mul_f16 v235, v236, v235
	v_pk_fma_f16 v30, v235, v30, v240
	v_pk_fma_f16 v34, v235, v34, v242
	v_add_co_u32 v235, vcc_lo, v108, s28
	v_add_co_ci_u32_e64 v236, null, 0, v109, vcc_lo
	v_add_co_u32 v237, vcc_lo, v110, s28
	v_add_co_ci_u32_e64 v238, null, 0, v111, vcc_lo
	global_load_ushort v235, v[235:236], off
	v_mul_u32_u24_sdwa v240, v31, v233 dst_sel:DWORD dst_unused:UNUSED_PAD src0_sel:WORD_0 src1_sel:DWORD
	v_mul_u32_u24_sdwa v242, v35, v233 dst_sel:DWORD dst_unused:UNUSED_PAD src0_sel:WORD_0 src1_sel:DWORD
	global_load_dword v236, v[237:238], off offset:2
	s_waitcnt vmcnt(1)
	v_mul_u32_u24_e32 v235, 0x10001, v235
	s_waitcnt vmcnt(0)
	v_pk_lshrrev_b16 v237, 8, v236 op_sel:[1,0] op_sel_hi:[0,0]
	v_pk_lshrrev_b16 v236, 8, v236 op_sel:[1,1] op_sel_hi:[0,1]
	v_lshrrev_b32_e32 v238, 16, v237
	v_cvt_f16_i16_sdwa v237, sext(v237) dst_sel:DWORD dst_unused:UNUSED_PAD src0_sel:BYTE_0
	v_cvt_f16_i16_sdwa v238, sext(v238) dst_sel:DWORD dst_unused:UNUSED_PAD src0_sel:BYTE_0
	v_pack_b32_f16 v237, v237, v238
	v_lshrrev_b32_e32 v238, 16, v236
	v_cvt_f16_i16_sdwa v236, sext(v236) dst_sel:DWORD dst_unused:UNUSED_PAD src0_sel:BYTE_0
	v_pk_mul_f16 v237, v237, v235
	v_cvt_f16_i16_sdwa v238, sext(v238) dst_sel:DWORD dst_unused:UNUSED_PAD src0_sel:BYTE_0
	v_pack_b32_f16 v236, v236, v238
	v_pk_mul_f16 v235, v236, v235
	v_pk_fma_f16 v236, v237, v240, v239
	v_mul_u32_u24_sdwa v239, v31, v233 dst_sel:DWORD dst_unused:UNUSED_PAD src0_sel:WORD_1 src1_sel:DWORD
	v_pk_fma_f16 v237, v237, v242, v241
	v_pk_fma_f16 v238, v235, v240, v30
	v_add_co_u32 v30, vcc_lo, v114, s28
	v_pk_fma_f16 v235, v235, v242, v34
	v_add_co_ci_u32_e64 v31, null, 0, v115, vcc_lo
	v_add_co_u32 v34, vcc_lo, v228, s28
	v_mul_u32_u24_sdwa v240, v35, v233 dst_sel:DWORD dst_unused:UNUSED_PAD src0_sel:WORD_1 src1_sel:DWORD
	v_add_co_ci_u32_e64 v35, null, 0, v229, vcc_lo
	global_load_ushort v30, v[30:31], off
	global_load_dword v31, v[34:35], off offset:2
	s_waitcnt vmcnt(1)
	v_mul_u32_u24_e32 v30, 0x10001, v30
	s_waitcnt vmcnt(0)
	v_pk_lshrrev_b16 v34, 8, v31 op_sel:[1,0] op_sel_hi:[0,0]
	v_pk_lshrrev_b16 v31, 8, v31 op_sel:[1,1] op_sel_hi:[0,1]
	v_lshrrev_b32_e32 v35, 16, v34
	v_cvt_f16_i16_sdwa v34, sext(v34) dst_sel:DWORD dst_unused:UNUSED_PAD src0_sel:BYTE_0
	v_cvt_f16_i16_sdwa v35, sext(v35) dst_sel:DWORD dst_unused:UNUSED_PAD src0_sel:BYTE_0
	v_pack_b32_f16 v34, v34, v35
	v_lshrrev_b32_e32 v35, 16, v31
	v_cvt_f16_i16_sdwa v31, sext(v31) dst_sel:DWORD dst_unused:UNUSED_PAD src0_sel:BYTE_0
	v_pk_mul_f16 v34, v34, v30
	v_cvt_f16_i16_sdwa v35, sext(v35) dst_sel:DWORD dst_unused:UNUSED_PAD src0_sel:BYTE_0
	v_pk_fma_f16 v236, v34, v239, v236
	v_pack_b32_f16 v31, v31, v35
	v_pk_fma_f16 v237, v34, v240, v237
	v_pk_mul_f16 v30, v31, v30
	v_pk_fma_f16 v238, v30, v239, v238
	v_pk_fma_f16 v235, v30, v240, v235
	v_add_co_u32 v30, vcc_lo, v226, s28
	v_add_co_ci_u32_e64 v31, null, 0, v227, vcc_lo
	v_add_co_u32 v34, vcc_lo, v224, s28
	v_add_co_ci_u32_e64 v35, null, 0, v225, vcc_lo
	global_load_ushort v30, v[30:31], off
	v_mul_u32_u24_sdwa v239, v32, v233 dst_sel:DWORD dst_unused:UNUSED_PAD src0_sel:WORD_0 src1_sel:DWORD
	v_mul_u32_u24_sdwa v240, v36, v233 dst_sel:DWORD dst_unused:UNUSED_PAD src0_sel:WORD_0 src1_sel:DWORD
	global_load_dword v31, v[34:35], off offset:2
	v_mul_u32_u24_sdwa v32, v32, v233 dst_sel:DWORD dst_unused:UNUSED_PAD src0_sel:WORD_1 src1_sel:DWORD
	v_mul_u32_u24_sdwa v36, v36, v233 dst_sel:DWORD dst_unused:UNUSED_PAD src0_sel:WORD_1 src1_sel:DWORD
	s_waitcnt vmcnt(1)
	v_mul_u32_u24_e32 v30, 0x10001, v30
	s_waitcnt vmcnt(0)
	v_pk_lshrrev_b16 v34, 8, v31 op_sel:[1,0] op_sel_hi:[0,0]
	v_pk_lshrrev_b16 v31, 8, v31 op_sel:[1,1] op_sel_hi:[0,1]
	v_lshrrev_b32_e32 v35, 16, v34
	v_cvt_f16_i16_sdwa v34, sext(v34) dst_sel:DWORD dst_unused:UNUSED_PAD src0_sel:BYTE_0
	v_cvt_f16_i16_sdwa v35, sext(v35) dst_sel:DWORD dst_unused:UNUSED_PAD src0_sel:BYTE_0
	v_pack_b32_f16 v34, v34, v35
	v_lshrrev_b32_e32 v35, 16, v31
	v_cvt_f16_i16_sdwa v31, sext(v31) dst_sel:DWORD dst_unused:UNUSED_PAD src0_sel:BYTE_0
	v_pk_mul_f16 v34, v34, v30
	v_cvt_f16_i16_sdwa v35, sext(v35) dst_sel:DWORD dst_unused:UNUSED_PAD src0_sel:BYTE_0
	v_pk_fma_f16 v236, v34, v239, v236
	v_pack_b32_f16 v31, v31, v35
	v_pk_fma_f16 v237, v34, v240, v237
	v_pk_mul_f16 v30, v31, v30
	v_pk_fma_f16 v238, v30, v239, v238
	v_pk_fma_f16 v235, v30, v240, v235
	v_add_co_u32 v30, vcc_lo, v222, s28
	v_add_co_ci_u32_e64 v31, null, 0, v223, vcc_lo
	v_add_co_u32 v34, vcc_lo, v220, s28
	v_add_co_ci_u32_e64 v35, null, 0, v221, vcc_lo
	global_load_ushort v30, v[30:31], off
	v_mul_u32_u24_sdwa v239, v26, v233 dst_sel:DWORD dst_unused:UNUSED_PAD src0_sel:WORD_0 src1_sel:DWORD
	v_mul_u32_u24_sdwa v26, v26, v233 dst_sel:DWORD dst_unused:UNUSED_PAD src0_sel:WORD_1 src1_sel:DWORD
	global_load_dword v31, v[34:35], off offset:2
	s_waitcnt vmcnt(1)
	v_mul_u32_u24_e32 v30, 0x10001, v30
	s_waitcnt vmcnt(0)
	v_pk_lshrrev_b16 v34, 8, v31 op_sel:[1,0] op_sel_hi:[0,0]
	v_pk_lshrrev_b16 v31, 8, v31 op_sel:[1,1] op_sel_hi:[0,1]
	v_lshrrev_b32_e32 v35, 16, v34
	v_cvt_f16_i16_sdwa v34, sext(v34) dst_sel:DWORD dst_unused:UNUSED_PAD src0_sel:BYTE_0
	v_cvt_f16_i16_sdwa v35, sext(v35) dst_sel:DWORD dst_unused:UNUSED_PAD src0_sel:BYTE_0
	v_pack_b32_f16 v34, v34, v35
	v_lshrrev_b32_e32 v35, 16, v31
	v_cvt_f16_i16_sdwa v31, sext(v31) dst_sel:DWORD dst_unused:UNUSED_PAD src0_sel:BYTE_0
	v_pk_mul_f16 v34, v34, v30
	v_cvt_f16_i16_sdwa v35, sext(v35) dst_sel:DWORD dst_unused:UNUSED_PAD src0_sel:BYTE_0
	v_pk_fma_f16 v236, v34, v32, v236
	v_pack_b32_f16 v31, v31, v35
	v_pk_fma_f16 v237, v34, v36, v237
	v_pk_mul_f16 v30, v31, v30
	v_pk_fma_f16 v32, v30, v32, v238
	v_pk_fma_f16 v36, v30, v36, v235
	v_add_co_u32 v30, vcc_lo, v218, s28
	v_add_co_ci_u32_e64 v31, null, 0, v219, vcc_lo
	v_add_co_u32 v34, vcc_lo, v216, s28
	v_add_co_ci_u32_e64 v35, null, 0, v217, vcc_lo
	global_load_ushort v30, v[30:31], off
	v_mul_u32_u24_sdwa v235, v33, v233 dst_sel:DWORD dst_unused:UNUSED_PAD src0_sel:WORD_0 src1_sel:DWORD
	v_mul_u32_u24_sdwa v238, v37, v233 dst_sel:DWORD dst_unused:UNUSED_PAD src0_sel:WORD_0 src1_sel:DWORD
	global_load_dword v31, v[34:35], off offset:2
	v_mul_u32_u24_sdwa v37, v37, v233 dst_sel:DWORD dst_unused:UNUSED_PAD src0_sel:WORD_1 src1_sel:DWORD
	s_waitcnt vmcnt(1)
	v_mul_u32_u24_e32 v30, 0x10001, v30
	s_waitcnt vmcnt(0)
	v_pk_lshrrev_b16 v34, 8, v31 op_sel:[1,0] op_sel_hi:[0,0]
	v_pk_lshrrev_b16 v31, 8, v31 op_sel:[1,1] op_sel_hi:[0,1]
	v_lshrrev_b32_e32 v35, 16, v34
	v_cvt_f16_i16_sdwa v34, sext(v34) dst_sel:DWORD dst_unused:UNUSED_PAD src0_sel:BYTE_0
	v_cvt_f16_i16_sdwa v35, sext(v35) dst_sel:DWORD dst_unused:UNUSED_PAD src0_sel:BYTE_0
	v_pack_b32_f16 v34, v34, v35
	v_lshrrev_b32_e32 v35, 16, v31
	v_cvt_f16_i16_sdwa v31, sext(v31) dst_sel:DWORD dst_unused:UNUSED_PAD src0_sel:BYTE_0
	v_pk_mul_f16 v34, v34, v30
	v_cvt_f16_i16_sdwa v35, sext(v35) dst_sel:DWORD dst_unused:UNUSED_PAD src0_sel:BYTE_0
	v_pack_b32_f16 v31, v31, v35
	v_pk_fma_f16 v35, v34, v235, v236
	v_mul_u32_u24_sdwa v236, v33, v233 dst_sel:DWORD dst_unused:UNUSED_PAD src0_sel:WORD_1 src1_sel:DWORD
	v_pk_fma_f16 v34, v34, v238, v237
	v_pk_mul_f16 v30, v31, v30
	v_pk_fma_f16 v235, v30, v235, v32
	v_pk_fma_f16 v36, v30, v238, v36
	v_add_co_u32 v30, vcc_lo, v214, s28
	v_add_co_ci_u32_e64 v31, null, 0, v215, vcc_lo
	v_add_co_u32 v32, vcc_lo, v212, s28
	v_add_co_ci_u32_e64 v33, null, 0, v213, vcc_lo
	global_load_ushort v30, v[30:31], off
	global_load_dword v31, v[32:33], off offset:2
	s_waitcnt vmcnt(1)
	v_mul_u32_u24_e32 v30, 0x10001, v30
	s_waitcnt vmcnt(0)
	v_pk_lshrrev_b16 v32, 8, v31 op_sel:[1,0] op_sel_hi:[0,0]
	v_pk_lshrrev_b16 v31, 8, v31 op_sel:[1,1] op_sel_hi:[0,1]
	v_lshrrev_b32_e32 v33, 16, v32
	v_cvt_f16_i16_sdwa v32, sext(v32) dst_sel:DWORD dst_unused:UNUSED_PAD src0_sel:BYTE_0
	v_cvt_f16_i16_sdwa v33, sext(v33) dst_sel:DWORD dst_unused:UNUSED_PAD src0_sel:BYTE_0
	v_pack_b32_f16 v32, v32, v33
	v_lshrrev_b32_e32 v33, 16, v31
	v_cvt_f16_i16_sdwa v31, sext(v31) dst_sel:DWORD dst_unused:UNUSED_PAD src0_sel:BYTE_0
	v_pk_mul_f16 v32, v32, v30
	v_cvt_f16_i16_sdwa v33, sext(v33) dst_sel:DWORD dst_unused:UNUSED_PAD src0_sel:BYTE_0
	v_pk_fma_f16 v238, v32, v37, v34
	v_pack_b32_f16 v31, v31, v33
	v_add_co_u32 v34, vcc_lo, v210, s28
	v_pk_fma_f16 v237, v32, v236, v35
	v_add_co_ci_u32_e64 v35, null, 0, v211, vcc_lo
	v_pk_mul_f16 v30, v31, v30
	global_load_ushort v34, v[34:35], off
	v_pk_fma_f16 v235, v30, v236, v235
	v_pk_fma_f16 v236, v30, v37, v36
	v_add_co_u32 v36, vcc_lo, v208, s28
	v_add_co_ci_u32_e64 v37, null, 0, v209, vcc_lo
	ds_read_b128 v[30:33], v89 offset:272
	global_load_dword v35, v[36:37], off offset:2
	s_waitcnt lgkmcnt(0)
	v_mul_u32_u24_sdwa v240, v30, v233 dst_sel:DWORD dst_unused:UNUSED_PAD src0_sel:WORD_0 src1_sel:DWORD
	v_mul_u32_u24_sdwa v30, v30, v233 dst_sel:DWORD dst_unused:UNUSED_PAD src0_sel:WORD_1 src1_sel:DWORD
	s_waitcnt vmcnt(1)
	v_mul_u32_u24_e32 v34, 0x10001, v34
	s_waitcnt vmcnt(0)
	v_pk_lshrrev_b16 v36, 8, v35 op_sel:[1,0] op_sel_hi:[0,0]
	v_pk_lshrrev_b16 v35, 8, v35 op_sel:[1,1] op_sel_hi:[0,1]
	v_lshrrev_b32_e32 v37, 16, v36
	v_cvt_f16_i16_sdwa v36, sext(v36) dst_sel:DWORD dst_unused:UNUSED_PAD src0_sel:BYTE_0
	v_cvt_f16_i16_sdwa v37, sext(v37) dst_sel:DWORD dst_unused:UNUSED_PAD src0_sel:BYTE_0
	v_pack_b32_f16 v36, v36, v37
	v_lshrrev_b32_e32 v37, 16, v35
	v_cvt_f16_i16_sdwa v35, sext(v35) dst_sel:DWORD dst_unused:UNUSED_PAD src0_sel:BYTE_0
	v_pk_mul_f16 v36, v36, v34
	v_cvt_f16_i16_sdwa v37, sext(v37) dst_sel:DWORD dst_unused:UNUSED_PAD src0_sel:BYTE_0
	v_pk_fma_f16 v237, v36, v239, v237
	v_pack_b32_f16 v35, v35, v37
	v_pk_fma_f16 v238, v36, v240, v238
	v_pk_mul_f16 v34, v35, v34
	v_pk_fma_f16 v235, v34, v239, v235
	v_pk_fma_f16 v236, v34, v240, v236
	v_add_co_u32 v34, vcc_lo, v206, s28
	v_add_co_ci_u32_e64 v35, null, 0, v207, vcc_lo
	v_add_co_u32 v36, vcc_lo, v204, s28
	v_add_co_ci_u32_e64 v37, null, 0, v205, vcc_lo
	global_load_ushort v34, v[34:35], off
	global_load_dword v35, v[36:37], off offset:2
	s_waitcnt vmcnt(1)
	v_mul_u32_u24_e32 v34, 0x10001, v34
	s_waitcnt vmcnt(0)
	v_pk_lshrrev_b16 v36, 8, v35 op_sel:[1,0] op_sel_hi:[0,0]
	v_pk_lshrrev_b16 v35, 8, v35 op_sel:[1,1] op_sel_hi:[0,1]
	v_lshrrev_b32_e32 v37, 16, v36
	v_cvt_f16_i16_sdwa v36, sext(v36) dst_sel:DWORD dst_unused:UNUSED_PAD src0_sel:BYTE_0
	v_cvt_f16_i16_sdwa v37, sext(v37) dst_sel:DWORD dst_unused:UNUSED_PAD src0_sel:BYTE_0
	v_pack_b32_f16 v36, v36, v37
	v_lshrrev_b32_e32 v37, 16, v35
	v_cvt_f16_i16_sdwa v35, sext(v35) dst_sel:DWORD dst_unused:UNUSED_PAD src0_sel:BYTE_0
	v_pk_mul_f16 v36, v36, v34
	v_cvt_f16_i16_sdwa v37, sext(v37) dst_sel:DWORD dst_unused:UNUSED_PAD src0_sel:BYTE_0
	v_pk_fma_f16 v237, v36, v26, v237
	v_pack_b32_f16 v35, v35, v37
	v_pk_fma_f16 v238, v36, v30, v238
	v_pk_mul_f16 v34, v35, v34
	v_pk_fma_f16 v26, v34, v26, v235
	v_pk_fma_f16 v30, v34, v30, v236
	v_add_co_u32 v34, vcc_lo, v202, s28
	v_add_co_ci_u32_e64 v35, null, 0, v203, vcc_lo
	v_add_co_u32 v36, vcc_lo, v200, s28
	v_add_co_ci_u32_e64 v37, null, 0, v201, vcc_lo
	global_load_ushort v34, v[34:35], off
	v_mul_u32_u24_sdwa v235, v27, v233 dst_sel:DWORD dst_unused:UNUSED_PAD src0_sel:WORD_0 src1_sel:DWORD
	v_mul_u32_u24_sdwa v236, v31, v233 dst_sel:DWORD dst_unused:UNUSED_PAD src0_sel:WORD_0 src1_sel:DWORD
	global_load_dword v35, v[36:37], off offset:2
	s_waitcnt vmcnt(1)
	v_mul_u32_u24_e32 v34, 0x10001, v34
	s_waitcnt vmcnt(0)
	v_pk_lshrrev_b16 v36, 8, v35 op_sel:[1,0] op_sel_hi:[0,0]
	v_pk_lshrrev_b16 v35, 8, v35 op_sel:[1,1] op_sel_hi:[0,1]
	v_lshrrev_b32_e32 v37, 16, v36
	v_cvt_f16_i16_sdwa v36, sext(v36) dst_sel:DWORD dst_unused:UNUSED_PAD src0_sel:BYTE_0
	v_cvt_f16_i16_sdwa v37, sext(v37) dst_sel:DWORD dst_unused:UNUSED_PAD src0_sel:BYTE_0
	v_pack_b32_f16 v36, v36, v37
	v_lshrrev_b32_e32 v37, 16, v35
	v_cvt_f16_i16_sdwa v35, sext(v35) dst_sel:DWORD dst_unused:UNUSED_PAD src0_sel:BYTE_0
	v_pk_mul_f16 v36, v36, v34
	v_cvt_f16_i16_sdwa v37, sext(v37) dst_sel:DWORD dst_unused:UNUSED_PAD src0_sel:BYTE_0
	v_pack_b32_f16 v35, v35, v37
	v_pk_mul_f16 v34, v35, v34
	v_pk_fma_f16 v35, v36, v235, v237
	v_pk_fma_f16 v36, v36, v236, v238
	;; [unrolled: 1-line block ×3, first 2 shown]
	v_add_co_u32 v26, vcc_lo, v198, s28
	v_pk_fma_f16 v34, v34, v236, v30
	v_mul_u32_u24_sdwa v235, v27, v233 dst_sel:DWORD dst_unused:UNUSED_PAD src0_sel:WORD_1 src1_sel:DWORD
	v_add_co_ci_u32_e64 v27, null, 0, v199, vcc_lo
	v_add_co_u32 v30, vcc_lo, v196, s28
	v_mul_u32_u24_sdwa v236, v31, v233 dst_sel:DWORD dst_unused:UNUSED_PAD src0_sel:WORD_1 src1_sel:DWORD
	v_add_co_ci_u32_e64 v31, null, 0, v197, vcc_lo
	global_load_ushort v26, v[26:27], off
	global_load_dword v27, v[30:31], off offset:2
	s_waitcnt vmcnt(1)
	v_mul_u32_u24_e32 v26, 0x10001, v26
	s_waitcnt vmcnt(0)
	v_pk_lshrrev_b16 v30, 8, v27 op_sel:[1,0] op_sel_hi:[0,0]
	v_pk_lshrrev_b16 v27, 8, v27 op_sel:[1,1] op_sel_hi:[0,1]
	v_lshrrev_b32_e32 v31, 16, v30
	v_cvt_f16_i16_sdwa v30, sext(v30) dst_sel:DWORD dst_unused:UNUSED_PAD src0_sel:BYTE_0
	v_cvt_f16_i16_sdwa v31, sext(v31) dst_sel:DWORD dst_unused:UNUSED_PAD src0_sel:BYTE_0
	v_pack_b32_f16 v30, v30, v31
	v_lshrrev_b32_e32 v31, 16, v27
	v_cvt_f16_i16_sdwa v27, sext(v27) dst_sel:DWORD dst_unused:UNUSED_PAD src0_sel:BYTE_0
	v_pk_mul_f16 v30, v30, v26
	v_cvt_f16_i16_sdwa v31, sext(v31) dst_sel:DWORD dst_unused:UNUSED_PAD src0_sel:BYTE_0
	v_pk_fma_f16 v35, v30, v235, v35
	v_pack_b32_f16 v27, v27, v31
	v_pk_fma_f16 v36, v30, v236, v36
	v_pk_mul_f16 v26, v27, v26
	v_pk_fma_f16 v37, v26, v235, v37
	v_pk_fma_f16 v34, v26, v236, v34
	v_add_co_u32 v26, vcc_lo, v194, s28
	v_add_co_ci_u32_e64 v27, null, 0, v195, vcc_lo
	v_add_co_u32 v30, vcc_lo, v192, s28
	v_add_co_ci_u32_e64 v31, null, 0, v193, vcc_lo
	global_load_ushort v26, v[26:27], off
	v_mul_u32_u24_sdwa v235, v28, v233 dst_sel:DWORD dst_unused:UNUSED_PAD src0_sel:WORD_0 src1_sel:DWORD
	v_mul_u32_u24_sdwa v236, v32, v233 dst_sel:DWORD dst_unused:UNUSED_PAD src0_sel:WORD_0 src1_sel:DWORD
	global_load_dword v27, v[30:31], off offset:2
	v_mul_u32_u24_sdwa v28, v28, v233 dst_sel:DWORD dst_unused:UNUSED_PAD src0_sel:WORD_1 src1_sel:DWORD
	v_mul_u32_u24_sdwa v32, v32, v233 dst_sel:DWORD dst_unused:UNUSED_PAD src0_sel:WORD_1 src1_sel:DWORD
	s_waitcnt vmcnt(1)
	v_mul_u32_u24_e32 v26, 0x10001, v26
	s_waitcnt vmcnt(0)
	v_pk_lshrrev_b16 v30, 8, v27 op_sel:[1,0] op_sel_hi:[0,0]
	v_pk_lshrrev_b16 v27, 8, v27 op_sel:[1,1] op_sel_hi:[0,1]
	v_lshrrev_b32_e32 v31, 16, v30
	v_cvt_f16_i16_sdwa v30, sext(v30) dst_sel:DWORD dst_unused:UNUSED_PAD src0_sel:BYTE_0
	v_cvt_f16_i16_sdwa v31, sext(v31) dst_sel:DWORD dst_unused:UNUSED_PAD src0_sel:BYTE_0
	v_pack_b32_f16 v30, v30, v31
	v_lshrrev_b32_e32 v31, 16, v27
	v_cvt_f16_i16_sdwa v27, sext(v27) dst_sel:DWORD dst_unused:UNUSED_PAD src0_sel:BYTE_0
	v_pk_mul_f16 v30, v30, v26
	v_cvt_f16_i16_sdwa v31, sext(v31) dst_sel:DWORD dst_unused:UNUSED_PAD src0_sel:BYTE_0
	v_pk_fma_f16 v35, v30, v235, v35
	v_pack_b32_f16 v27, v27, v31
	v_pk_fma_f16 v36, v30, v236, v36
	v_pk_mul_f16 v26, v27, v26
	v_pk_fma_f16 v37, v26, v235, v37
	v_pk_fma_f16 v34, v26, v236, v34
	v_add_co_u32 v26, vcc_lo, v190, s28
	v_add_co_ci_u32_e64 v27, null, 0, v191, vcc_lo
	v_add_co_u32 v30, vcc_lo, v188, s28
	v_add_co_ci_u32_e64 v31, null, 0, v189, vcc_lo
	global_load_ushort v26, v[26:27], off
	v_mul_u32_u24_sdwa v235, v22, v233 dst_sel:DWORD dst_unused:UNUSED_PAD src0_sel:WORD_0 src1_sel:DWORD
	v_mul_u32_u24_sdwa v22, v22, v233 dst_sel:DWORD dst_unused:UNUSED_PAD src0_sel:WORD_1 src1_sel:DWORD
	global_load_dword v27, v[30:31], off offset:2
	s_waitcnt vmcnt(1)
	v_mul_u32_u24_e32 v26, 0x10001, v26
	s_waitcnt vmcnt(0)
	v_pk_lshrrev_b16 v30, 8, v27 op_sel:[1,0] op_sel_hi:[0,0]
	v_pk_lshrrev_b16 v27, 8, v27 op_sel:[1,1] op_sel_hi:[0,1]
	v_lshrrev_b32_e32 v31, 16, v30
	v_cvt_f16_i16_sdwa v30, sext(v30) dst_sel:DWORD dst_unused:UNUSED_PAD src0_sel:BYTE_0
	v_cvt_f16_i16_sdwa v31, sext(v31) dst_sel:DWORD dst_unused:UNUSED_PAD src0_sel:BYTE_0
	v_pack_b32_f16 v30, v30, v31
	v_lshrrev_b32_e32 v31, 16, v27
	v_cvt_f16_i16_sdwa v27, sext(v27) dst_sel:DWORD dst_unused:UNUSED_PAD src0_sel:BYTE_0
	v_pk_mul_f16 v30, v30, v26
	v_cvt_f16_i16_sdwa v31, sext(v31) dst_sel:DWORD dst_unused:UNUSED_PAD src0_sel:BYTE_0
	v_pk_fma_f16 v35, v30, v28, v35
	v_pack_b32_f16 v27, v27, v31
	v_pk_fma_f16 v36, v30, v32, v36
	v_pk_mul_f16 v26, v27, v26
	v_pk_fma_f16 v28, v26, v28, v37
	v_pk_fma_f16 v32, v26, v32, v34
	v_add_co_u32 v26, vcc_lo, v186, s28
	v_add_co_ci_u32_e64 v27, null, 0, v187, vcc_lo
	v_add_co_u32 v30, vcc_lo, v184, s28
	v_add_co_ci_u32_e64 v31, null, 0, v185, vcc_lo
	global_load_ushort v26, v[26:27], off
	v_mul_u32_u24_sdwa v34, v29, v233 dst_sel:DWORD dst_unused:UNUSED_PAD src0_sel:WORD_0 src1_sel:DWORD
	v_mul_u32_u24_sdwa v37, v33, v233 dst_sel:DWORD dst_unused:UNUSED_PAD src0_sel:WORD_0 src1_sel:DWORD
	global_load_dword v27, v[30:31], off offset:2
	v_mul_u32_u24_sdwa v33, v33, v233 dst_sel:DWORD dst_unused:UNUSED_PAD src0_sel:WORD_1 src1_sel:DWORD
	s_waitcnt vmcnt(1)
	v_mul_u32_u24_e32 v26, 0x10001, v26
	s_waitcnt vmcnt(0)
	v_pk_lshrrev_b16 v30, 8, v27 op_sel:[1,0] op_sel_hi:[0,0]
	v_pk_lshrrev_b16 v27, 8, v27 op_sel:[1,1] op_sel_hi:[0,1]
	v_lshrrev_b32_e32 v31, 16, v30
	v_cvt_f16_i16_sdwa v30, sext(v30) dst_sel:DWORD dst_unused:UNUSED_PAD src0_sel:BYTE_0
	v_cvt_f16_i16_sdwa v31, sext(v31) dst_sel:DWORD dst_unused:UNUSED_PAD src0_sel:BYTE_0
	v_pack_b32_f16 v30, v30, v31
	v_lshrrev_b32_e32 v31, 16, v27
	v_cvt_f16_i16_sdwa v27, sext(v27) dst_sel:DWORD dst_unused:UNUSED_PAD src0_sel:BYTE_0
	v_pk_mul_f16 v30, v30, v26
	v_cvt_f16_i16_sdwa v31, sext(v31) dst_sel:DWORD dst_unused:UNUSED_PAD src0_sel:BYTE_0
	v_pack_b32_f16 v27, v27, v31
	v_pk_fma_f16 v31, v30, v34, v35
	v_mul_u32_u24_sdwa v35, v29, v233 dst_sel:DWORD dst_unused:UNUSED_PAD src0_sel:WORD_1 src1_sel:DWORD
	v_pk_fma_f16 v30, v30, v37, v36
	v_pk_mul_f16 v26, v27, v26
	v_pk_fma_f16 v34, v26, v34, v28
	v_pk_fma_f16 v32, v26, v37, v32
	v_add_co_u32 v26, vcc_lo, v182, s28
	v_add_co_ci_u32_e64 v27, null, 0, v183, vcc_lo
	v_add_co_u32 v28, vcc_lo, v180, s28
	v_add_co_ci_u32_e64 v29, null, 0, v181, vcc_lo
	global_load_ushort v26, v[26:27], off
	global_load_dword v27, v[28:29], off offset:2
	s_waitcnt vmcnt(1)
	v_mul_u32_u24_e32 v26, 0x10001, v26
	s_waitcnt vmcnt(0)
	v_pk_lshrrev_b16 v28, 8, v27 op_sel:[1,0] op_sel_hi:[0,0]
	v_pk_lshrrev_b16 v27, 8, v27 op_sel:[1,1] op_sel_hi:[0,1]
	v_lshrrev_b32_e32 v29, 16, v28
	v_cvt_f16_i16_sdwa v28, sext(v28) dst_sel:DWORD dst_unused:UNUSED_PAD src0_sel:BYTE_0
	v_cvt_f16_i16_sdwa v29, sext(v29) dst_sel:DWORD dst_unused:UNUSED_PAD src0_sel:BYTE_0
	v_pack_b32_f16 v28, v28, v29
	v_lshrrev_b32_e32 v29, 16, v27
	v_cvt_f16_i16_sdwa v27, sext(v27) dst_sel:DWORD dst_unused:UNUSED_PAD src0_sel:BYTE_0
	v_pk_mul_f16 v28, v28, v26
	v_cvt_f16_i16_sdwa v29, sext(v29) dst_sel:DWORD dst_unused:UNUSED_PAD src0_sel:BYTE_0
	v_pk_fma_f16 v37, v28, v33, v30
	v_pack_b32_f16 v27, v27, v29
	v_add_co_u32 v30, vcc_lo, v178, s28
	v_pk_fma_f16 v36, v28, v35, v31
	v_add_co_ci_u32_e64 v31, null, 0, v179, vcc_lo
	v_pk_mul_f16 v26, v27, v26
	global_load_ushort v30, v[30:31], off
	v_pk_fma_f16 v34, v26, v35, v34
	v_pk_fma_f16 v35, v26, v33, v32
	v_add_co_u32 v32, vcc_lo, v176, s28
	v_add_co_ci_u32_e64 v33, null, 0, v177, vcc_lo
	ds_read_b128 v[26:29], v89 offset:288
	global_load_dword v31, v[32:33], off offset:2
	s_waitcnt lgkmcnt(0)
	v_mul_u32_u24_sdwa v236, v26, v233 dst_sel:DWORD dst_unused:UNUSED_PAD src0_sel:WORD_0 src1_sel:DWORD
	v_mul_u32_u24_sdwa v26, v26, v233 dst_sel:DWORD dst_unused:UNUSED_PAD src0_sel:WORD_1 src1_sel:DWORD
	s_waitcnt vmcnt(1)
	v_mul_u32_u24_e32 v30, 0x10001, v30
	s_waitcnt vmcnt(0)
	v_pk_lshrrev_b16 v32, 8, v31 op_sel:[1,0] op_sel_hi:[0,0]
	v_pk_lshrrev_b16 v31, 8, v31 op_sel:[1,1] op_sel_hi:[0,1]
	v_lshrrev_b32_e32 v33, 16, v32
	v_cvt_f16_i16_sdwa v32, sext(v32) dst_sel:DWORD dst_unused:UNUSED_PAD src0_sel:BYTE_0
	v_cvt_f16_i16_sdwa v33, sext(v33) dst_sel:DWORD dst_unused:UNUSED_PAD src0_sel:BYTE_0
	v_pack_b32_f16 v32, v32, v33
	v_lshrrev_b32_e32 v33, 16, v31
	v_cvt_f16_i16_sdwa v31, sext(v31) dst_sel:DWORD dst_unused:UNUSED_PAD src0_sel:BYTE_0
	v_pk_mul_f16 v32, v32, v30
	v_cvt_f16_i16_sdwa v33, sext(v33) dst_sel:DWORD dst_unused:UNUSED_PAD src0_sel:BYTE_0
	v_pk_fma_f16 v36, v32, v235, v36
	v_pack_b32_f16 v31, v31, v33
	v_pk_fma_f16 v37, v32, v236, v37
	v_pk_mul_f16 v30, v31, v30
	v_pk_fma_f16 v34, v30, v235, v34
	v_pk_fma_f16 v35, v30, v236, v35
	v_add_co_u32 v30, vcc_lo, v174, s28
	v_add_co_ci_u32_e64 v31, null, 0, v175, vcc_lo
	v_add_co_u32 v32, vcc_lo, v172, s28
	v_add_co_ci_u32_e64 v33, null, 0, v173, vcc_lo
	global_load_ushort v30, v[30:31], off
	global_load_dword v31, v[32:33], off offset:2
	s_waitcnt vmcnt(1)
	v_mul_u32_u24_e32 v30, 0x10001, v30
	s_waitcnt vmcnt(0)
	v_pk_lshrrev_b16 v32, 8, v31 op_sel:[1,0] op_sel_hi:[0,0]
	v_pk_lshrrev_b16 v31, 8, v31 op_sel:[1,1] op_sel_hi:[0,1]
	v_lshrrev_b32_e32 v33, 16, v32
	v_cvt_f16_i16_sdwa v32, sext(v32) dst_sel:DWORD dst_unused:UNUSED_PAD src0_sel:BYTE_0
	v_cvt_f16_i16_sdwa v33, sext(v33) dst_sel:DWORD dst_unused:UNUSED_PAD src0_sel:BYTE_0
	v_pack_b32_f16 v32, v32, v33
	v_lshrrev_b32_e32 v33, 16, v31
	v_cvt_f16_i16_sdwa v31, sext(v31) dst_sel:DWORD dst_unused:UNUSED_PAD src0_sel:BYTE_0
	v_pk_mul_f16 v32, v32, v30
	v_cvt_f16_i16_sdwa v33, sext(v33) dst_sel:DWORD dst_unused:UNUSED_PAD src0_sel:BYTE_0
	v_pk_fma_f16 v36, v32, v22, v36
	v_pack_b32_f16 v31, v31, v33
	v_pk_fma_f16 v37, v32, v26, v37
	v_pk_mul_f16 v30, v31, v30
	v_pk_fma_f16 v22, v30, v22, v34
	v_pk_fma_f16 v26, v30, v26, v35
	v_add_co_u32 v30, vcc_lo, v170, s28
	v_add_co_ci_u32_e64 v31, null, 0, v171, vcc_lo
	v_add_co_u32 v32, vcc_lo, v168, s28
	v_add_co_ci_u32_e64 v33, null, 0, v169, vcc_lo
	global_load_ushort v30, v[30:31], off
	v_mul_u32_u24_sdwa v34, v23, v233 dst_sel:DWORD dst_unused:UNUSED_PAD src0_sel:WORD_0 src1_sel:DWORD
	v_mul_u32_u24_sdwa v35, v27, v233 dst_sel:DWORD dst_unused:UNUSED_PAD src0_sel:WORD_0 src1_sel:DWORD
	global_load_dword v31, v[32:33], off offset:2
	s_waitcnt vmcnt(1)
	v_mul_u32_u24_e32 v30, 0x10001, v30
	s_waitcnt vmcnt(0)
	v_pk_lshrrev_b16 v32, 8, v31 op_sel:[1,0] op_sel_hi:[0,0]
	v_pk_lshrrev_b16 v31, 8, v31 op_sel:[1,1] op_sel_hi:[0,1]
	v_lshrrev_b32_e32 v33, 16, v32
	v_cvt_f16_i16_sdwa v32, sext(v32) dst_sel:DWORD dst_unused:UNUSED_PAD src0_sel:BYTE_0
	v_cvt_f16_i16_sdwa v33, sext(v33) dst_sel:DWORD dst_unused:UNUSED_PAD src0_sel:BYTE_0
	v_pack_b32_f16 v32, v32, v33
	v_lshrrev_b32_e32 v33, 16, v31
	v_cvt_f16_i16_sdwa v31, sext(v31) dst_sel:DWORD dst_unused:UNUSED_PAD src0_sel:BYTE_0
	v_pk_mul_f16 v32, v32, v30
	v_cvt_f16_i16_sdwa v33, sext(v33) dst_sel:DWORD dst_unused:UNUSED_PAD src0_sel:BYTE_0
	v_pack_b32_f16 v31, v31, v33
	v_pk_mul_f16 v30, v31, v30
	v_pk_fma_f16 v31, v32, v34, v36
	v_pk_fma_f16 v32, v32, v35, v37
	v_pk_fma_f16 v33, v30, v34, v22
	v_add_co_u32 v22, vcc_lo, v166, s28
	v_pk_fma_f16 v30, v30, v35, v26
	v_mul_u32_u24_sdwa v34, v23, v233 dst_sel:DWORD dst_unused:UNUSED_PAD src0_sel:WORD_1 src1_sel:DWORD
	v_add_co_ci_u32_e64 v23, null, 0, v167, vcc_lo
	v_add_co_u32 v26, vcc_lo, v164, s28
	v_mul_u32_u24_sdwa v35, v27, v233 dst_sel:DWORD dst_unused:UNUSED_PAD src0_sel:WORD_1 src1_sel:DWORD
	v_add_co_ci_u32_e64 v27, null, 0, v165, vcc_lo
	global_load_ushort v22, v[22:23], off
	global_load_dword v23, v[26:27], off offset:2
	s_waitcnt vmcnt(1)
	v_mul_u32_u24_e32 v22, 0x10001, v22
	s_waitcnt vmcnt(0)
	v_pk_lshrrev_b16 v26, 8, v23 op_sel:[1,0] op_sel_hi:[0,0]
	v_pk_lshrrev_b16 v23, 8, v23 op_sel:[1,1] op_sel_hi:[0,1]
	v_lshrrev_b32_e32 v27, 16, v26
	v_cvt_f16_i16_sdwa v26, sext(v26) dst_sel:DWORD dst_unused:UNUSED_PAD src0_sel:BYTE_0
	v_cvt_f16_i16_sdwa v27, sext(v27) dst_sel:DWORD dst_unused:UNUSED_PAD src0_sel:BYTE_0
	v_pack_b32_f16 v26, v26, v27
	v_lshrrev_b32_e32 v27, 16, v23
	v_cvt_f16_i16_sdwa v23, sext(v23) dst_sel:DWORD dst_unused:UNUSED_PAD src0_sel:BYTE_0
	v_pk_mul_f16 v26, v26, v22
	v_cvt_f16_i16_sdwa v27, sext(v27) dst_sel:DWORD dst_unused:UNUSED_PAD src0_sel:BYTE_0
	v_pk_fma_f16 v31, v26, v34, v31
	v_pack_b32_f16 v23, v23, v27
	v_pk_fma_f16 v32, v26, v35, v32
	v_pk_mul_f16 v22, v23, v22
	v_pk_fma_f16 v33, v22, v34, v33
	v_pk_fma_f16 v30, v22, v35, v30
	v_add_co_u32 v22, vcc_lo, v162, s28
	v_add_co_ci_u32_e64 v23, null, 0, v163, vcc_lo
	v_add_co_u32 v26, vcc_lo, v160, s28
	v_add_co_ci_u32_e64 v27, null, 0, v161, vcc_lo
	global_load_ushort v22, v[22:23], off
	v_mul_u32_u24_sdwa v34, v24, v233 dst_sel:DWORD dst_unused:UNUSED_PAD src0_sel:WORD_0 src1_sel:DWORD
	v_mul_u32_u24_sdwa v35, v28, v233 dst_sel:DWORD dst_unused:UNUSED_PAD src0_sel:WORD_0 src1_sel:DWORD
	global_load_dword v23, v[26:27], off offset:2
	v_mul_u32_u24_sdwa v24, v24, v233 dst_sel:DWORD dst_unused:UNUSED_PAD src0_sel:WORD_1 src1_sel:DWORD
	v_mul_u32_u24_sdwa v28, v28, v233 dst_sel:DWORD dst_unused:UNUSED_PAD src0_sel:WORD_1 src1_sel:DWORD
	s_waitcnt vmcnt(1)
	v_mul_u32_u24_e32 v22, 0x10001, v22
	s_waitcnt vmcnt(0)
	v_pk_lshrrev_b16 v26, 8, v23 op_sel:[1,0] op_sel_hi:[0,0]
	v_pk_lshrrev_b16 v23, 8, v23 op_sel:[1,1] op_sel_hi:[0,1]
	v_lshrrev_b32_e32 v27, 16, v26
	v_cvt_f16_i16_sdwa v26, sext(v26) dst_sel:DWORD dst_unused:UNUSED_PAD src0_sel:BYTE_0
	v_cvt_f16_i16_sdwa v27, sext(v27) dst_sel:DWORD dst_unused:UNUSED_PAD src0_sel:BYTE_0
	v_pack_b32_f16 v26, v26, v27
	v_lshrrev_b32_e32 v27, 16, v23
	v_cvt_f16_i16_sdwa v23, sext(v23) dst_sel:DWORD dst_unused:UNUSED_PAD src0_sel:BYTE_0
	v_pk_mul_f16 v26, v26, v22
	v_cvt_f16_i16_sdwa v27, sext(v27) dst_sel:DWORD dst_unused:UNUSED_PAD src0_sel:BYTE_0
	v_pk_fma_f16 v31, v26, v34, v31
	v_pack_b32_f16 v23, v23, v27
	v_pk_fma_f16 v32, v26, v35, v32
	v_pk_mul_f16 v22, v23, v22
	v_pk_fma_f16 v33, v22, v34, v33
	v_pk_fma_f16 v30, v22, v35, v30
	v_add_co_u32 v22, vcc_lo, v158, s28
	v_add_co_ci_u32_e64 v23, null, 0, v159, vcc_lo
	v_add_co_u32 v26, vcc_lo, v156, s28
	v_add_co_ci_u32_e64 v27, null, 0, v157, vcc_lo
	global_load_ushort v22, v[22:23], off
	v_mul_u32_u24_sdwa v34, v18, v233 dst_sel:DWORD dst_unused:UNUSED_PAD src0_sel:WORD_0 src1_sel:DWORD
	v_mul_u32_u24_sdwa v18, v18, v233 dst_sel:DWORD dst_unused:UNUSED_PAD src0_sel:WORD_1 src1_sel:DWORD
	global_load_dword v23, v[26:27], off offset:2
	s_waitcnt vmcnt(1)
	v_mul_u32_u24_e32 v22, 0x10001, v22
	s_waitcnt vmcnt(0)
	v_pk_lshrrev_b16 v26, 8, v23 op_sel:[1,0] op_sel_hi:[0,0]
	v_pk_lshrrev_b16 v23, 8, v23 op_sel:[1,1] op_sel_hi:[0,1]
	v_lshrrev_b32_e32 v27, 16, v26
	v_cvt_f16_i16_sdwa v26, sext(v26) dst_sel:DWORD dst_unused:UNUSED_PAD src0_sel:BYTE_0
	v_cvt_f16_i16_sdwa v27, sext(v27) dst_sel:DWORD dst_unused:UNUSED_PAD src0_sel:BYTE_0
	v_pack_b32_f16 v26, v26, v27
	v_lshrrev_b32_e32 v27, 16, v23
	v_cvt_f16_i16_sdwa v23, sext(v23) dst_sel:DWORD dst_unused:UNUSED_PAD src0_sel:BYTE_0
	v_pk_mul_f16 v26, v26, v22
	v_cvt_f16_i16_sdwa v27, sext(v27) dst_sel:DWORD dst_unused:UNUSED_PAD src0_sel:BYTE_0
	v_pk_fma_f16 v31, v26, v24, v31
	v_pack_b32_f16 v23, v23, v27
	v_pk_fma_f16 v32, v26, v28, v32
	v_pk_mul_f16 v22, v23, v22
	v_pk_fma_f16 v24, v22, v24, v33
	v_pk_fma_f16 v28, v22, v28, v30
	v_add_co_u32 v22, vcc_lo, v154, s28
	v_add_co_ci_u32_e64 v23, null, 0, v155, vcc_lo
	v_add_co_u32 v26, vcc_lo, v152, s28
	v_add_co_ci_u32_e64 v27, null, 0, v153, vcc_lo
	global_load_ushort v22, v[22:23], off
	v_mul_u32_u24_sdwa v30, v25, v233 dst_sel:DWORD dst_unused:UNUSED_PAD src0_sel:WORD_0 src1_sel:DWORD
	v_mul_u32_u24_sdwa v33, v29, v233 dst_sel:DWORD dst_unused:UNUSED_PAD src0_sel:WORD_0 src1_sel:DWORD
	global_load_dword v23, v[26:27], off offset:2
	v_mul_u32_u24_sdwa v29, v29, v233 dst_sel:DWORD dst_unused:UNUSED_PAD src0_sel:WORD_1 src1_sel:DWORD
	s_waitcnt vmcnt(1)
	v_mul_u32_u24_e32 v22, 0x10001, v22
	s_waitcnt vmcnt(0)
	v_pk_lshrrev_b16 v26, 8, v23 op_sel:[1,0] op_sel_hi:[0,0]
	v_pk_lshrrev_b16 v23, 8, v23 op_sel:[1,1] op_sel_hi:[0,1]
	v_lshrrev_b32_e32 v27, 16, v26
	v_cvt_f16_i16_sdwa v26, sext(v26) dst_sel:DWORD dst_unused:UNUSED_PAD src0_sel:BYTE_0
	v_cvt_f16_i16_sdwa v27, sext(v27) dst_sel:DWORD dst_unused:UNUSED_PAD src0_sel:BYTE_0
	v_pack_b32_f16 v26, v26, v27
	v_lshrrev_b32_e32 v27, 16, v23
	v_cvt_f16_i16_sdwa v23, sext(v23) dst_sel:DWORD dst_unused:UNUSED_PAD src0_sel:BYTE_0
	v_pk_mul_f16 v26, v26, v22
	v_cvt_f16_i16_sdwa v27, sext(v27) dst_sel:DWORD dst_unused:UNUSED_PAD src0_sel:BYTE_0
	v_pack_b32_f16 v23, v23, v27
	v_pk_fma_f16 v27, v26, v30, v31
	v_mul_u32_u24_sdwa v31, v25, v233 dst_sel:DWORD dst_unused:UNUSED_PAD src0_sel:WORD_1 src1_sel:DWORD
	v_pk_fma_f16 v26, v26, v33, v32
	v_pk_mul_f16 v22, v23, v22
	v_pk_fma_f16 v30, v22, v30, v24
	v_pk_fma_f16 v28, v22, v33, v28
	v_add_co_u32 v22, vcc_lo, v150, s28
	v_add_co_ci_u32_e64 v23, null, 0, v151, vcc_lo
	v_add_co_u32 v24, vcc_lo, v148, s28
	v_add_co_ci_u32_e64 v25, null, 0, v149, vcc_lo
	global_load_ushort v22, v[22:23], off
	global_load_dword v23, v[24:25], off offset:2
	s_waitcnt vmcnt(1)
	v_mul_u32_u24_e32 v22, 0x10001, v22
	s_waitcnt vmcnt(0)
	v_pk_lshrrev_b16 v24, 8, v23 op_sel:[1,0] op_sel_hi:[0,0]
	v_pk_lshrrev_b16 v23, 8, v23 op_sel:[1,1] op_sel_hi:[0,1]
	v_lshrrev_b32_e32 v25, 16, v24
	v_cvt_f16_i16_sdwa v24, sext(v24) dst_sel:DWORD dst_unused:UNUSED_PAD src0_sel:BYTE_0
	v_cvt_f16_i16_sdwa v25, sext(v25) dst_sel:DWORD dst_unused:UNUSED_PAD src0_sel:BYTE_0
	v_pack_b32_f16 v24, v24, v25
	v_lshrrev_b32_e32 v25, 16, v23
	v_cvt_f16_i16_sdwa v23, sext(v23) dst_sel:DWORD dst_unused:UNUSED_PAD src0_sel:BYTE_0
	v_pk_mul_f16 v24, v24, v22
	v_cvt_f16_i16_sdwa v25, sext(v25) dst_sel:DWORD dst_unused:UNUSED_PAD src0_sel:BYTE_0
	v_pk_fma_f16 v33, v24, v29, v26
	v_pack_b32_f16 v23, v23, v25
	v_add_co_u32 v26, vcc_lo, v146, s28
	v_pk_fma_f16 v32, v24, v31, v27
	v_add_co_ci_u32_e64 v27, null, 0, v147, vcc_lo
	v_pk_mul_f16 v22, v23, v22
	global_load_ushort v26, v[26:27], off
	v_pk_fma_f16 v30, v22, v31, v30
	v_pk_fma_f16 v31, v22, v29, v28
	v_add_co_u32 v28, vcc_lo, v144, s28
	v_add_co_ci_u32_e64 v29, null, 0, v145, vcc_lo
	ds_read_b128 v[22:25], v89 offset:304
	global_load_dword v27, v[28:29], off offset:2
	s_waitcnt lgkmcnt(0)
	v_mul_u32_u24_sdwa v35, v22, v233 dst_sel:DWORD dst_unused:UNUSED_PAD src0_sel:WORD_0 src1_sel:DWORD
	v_mul_u32_u24_sdwa v22, v22, v233 dst_sel:DWORD dst_unused:UNUSED_PAD src0_sel:WORD_1 src1_sel:DWORD
	s_waitcnt vmcnt(1)
	v_mul_u32_u24_e32 v26, 0x10001, v26
	s_waitcnt vmcnt(0)
	v_pk_lshrrev_b16 v28, 8, v27 op_sel:[1,0] op_sel_hi:[0,0]
	v_pk_lshrrev_b16 v27, 8, v27 op_sel:[1,1] op_sel_hi:[0,1]
	v_lshrrev_b32_e32 v29, 16, v28
	v_cvt_f16_i16_sdwa v28, sext(v28) dst_sel:DWORD dst_unused:UNUSED_PAD src0_sel:BYTE_0
	v_cvt_f16_i16_sdwa v29, sext(v29) dst_sel:DWORD dst_unused:UNUSED_PAD src0_sel:BYTE_0
	v_pack_b32_f16 v28, v28, v29
	v_lshrrev_b32_e32 v29, 16, v27
	v_cvt_f16_i16_sdwa v27, sext(v27) dst_sel:DWORD dst_unused:UNUSED_PAD src0_sel:BYTE_0
	v_pk_mul_f16 v28, v28, v26
	v_cvt_f16_i16_sdwa v29, sext(v29) dst_sel:DWORD dst_unused:UNUSED_PAD src0_sel:BYTE_0
	v_pk_fma_f16 v32, v28, v34, v32
	v_pack_b32_f16 v27, v27, v29
	v_pk_fma_f16 v33, v28, v35, v33
	v_pk_mul_f16 v26, v27, v26
	v_pk_fma_f16 v30, v26, v34, v30
	v_pk_fma_f16 v31, v26, v35, v31
	v_add_co_u32 v26, vcc_lo, v142, s28
	v_add_co_ci_u32_e64 v27, null, 0, v143, vcc_lo
	v_add_co_u32 v28, vcc_lo, v140, s28
	v_add_co_ci_u32_e64 v29, null, 0, v141, vcc_lo
	global_load_ushort v26, v[26:27], off
	global_load_dword v27, v[28:29], off offset:2
	s_waitcnt vmcnt(1)
	v_mul_u32_u24_e32 v26, 0x10001, v26
	s_waitcnt vmcnt(0)
	v_pk_lshrrev_b16 v28, 8, v27 op_sel:[1,0] op_sel_hi:[0,0]
	v_pk_lshrrev_b16 v27, 8, v27 op_sel:[1,1] op_sel_hi:[0,1]
	v_lshrrev_b32_e32 v29, 16, v28
	v_cvt_f16_i16_sdwa v28, sext(v28) dst_sel:DWORD dst_unused:UNUSED_PAD src0_sel:BYTE_0
	v_cvt_f16_i16_sdwa v29, sext(v29) dst_sel:DWORD dst_unused:UNUSED_PAD src0_sel:BYTE_0
	v_pack_b32_f16 v28, v28, v29
	v_lshrrev_b32_e32 v29, 16, v27
	v_cvt_f16_i16_sdwa v27, sext(v27) dst_sel:DWORD dst_unused:UNUSED_PAD src0_sel:BYTE_0
	v_pk_mul_f16 v28, v28, v26
	v_cvt_f16_i16_sdwa v29, sext(v29) dst_sel:DWORD dst_unused:UNUSED_PAD src0_sel:BYTE_0
	v_pk_fma_f16 v32, v28, v18, v32
	v_pack_b32_f16 v27, v27, v29
	v_pk_fma_f16 v33, v28, v22, v33
	v_pk_mul_f16 v26, v27, v26
	v_pk_fma_f16 v18, v26, v18, v30
	v_pk_fma_f16 v22, v26, v22, v31
	v_add_co_u32 v26, vcc_lo, v138, s28
	v_add_co_ci_u32_e64 v27, null, 0, v139, vcc_lo
	v_add_co_u32 v28, vcc_lo, v136, s28
	v_add_co_ci_u32_e64 v29, null, 0, v137, vcc_lo
	global_load_ushort v26, v[26:27], off
	v_mul_u32_u24_sdwa v30, v19, v233 dst_sel:DWORD dst_unused:UNUSED_PAD src0_sel:WORD_0 src1_sel:DWORD
	v_mul_u32_u24_sdwa v31, v23, v233 dst_sel:DWORD dst_unused:UNUSED_PAD src0_sel:WORD_0 src1_sel:DWORD
	global_load_dword v27, v[28:29], off offset:2
	s_waitcnt vmcnt(1)
	v_mul_u32_u24_e32 v26, 0x10001, v26
	s_waitcnt vmcnt(0)
	v_pk_lshrrev_b16 v28, 8, v27 op_sel:[1,0] op_sel_hi:[0,0]
	v_pk_lshrrev_b16 v27, 8, v27 op_sel:[1,1] op_sel_hi:[0,1]
	v_lshrrev_b32_e32 v29, 16, v28
	v_cvt_f16_i16_sdwa v28, sext(v28) dst_sel:DWORD dst_unused:UNUSED_PAD src0_sel:BYTE_0
	v_cvt_f16_i16_sdwa v29, sext(v29) dst_sel:DWORD dst_unused:UNUSED_PAD src0_sel:BYTE_0
	v_pack_b32_f16 v28, v28, v29
	v_lshrrev_b32_e32 v29, 16, v27
	v_cvt_f16_i16_sdwa v27, sext(v27) dst_sel:DWORD dst_unused:UNUSED_PAD src0_sel:BYTE_0
	v_pk_mul_f16 v28, v28, v26
	v_cvt_f16_i16_sdwa v29, sext(v29) dst_sel:DWORD dst_unused:UNUSED_PAD src0_sel:BYTE_0
	v_pack_b32_f16 v27, v27, v29
	v_pk_mul_f16 v26, v27, v26
	v_pk_fma_f16 v27, v28, v30, v32
	v_pk_fma_f16 v28, v28, v31, v33
	v_pk_fma_f16 v29, v26, v30, v18
	v_add_co_u32 v18, vcc_lo, v134, s28
	v_pk_fma_f16 v26, v26, v31, v22
	v_mul_u32_u24_sdwa v30, v19, v233 dst_sel:DWORD dst_unused:UNUSED_PAD src0_sel:WORD_1 src1_sel:DWORD
	v_add_co_ci_u32_e64 v19, null, 0, v135, vcc_lo
	v_add_co_u32 v22, vcc_lo, v132, s28
	v_mul_u32_u24_sdwa v31, v23, v233 dst_sel:DWORD dst_unused:UNUSED_PAD src0_sel:WORD_1 src1_sel:DWORD
	v_add_co_ci_u32_e64 v23, null, 0, v133, vcc_lo
	global_load_ushort v18, v[18:19], off
	global_load_dword v19, v[22:23], off offset:2
	s_waitcnt vmcnt(1)
	v_mul_u32_u24_e32 v18, 0x10001, v18
	s_waitcnt vmcnt(0)
	v_pk_lshrrev_b16 v22, 8, v19 op_sel:[1,0] op_sel_hi:[0,0]
	v_pk_lshrrev_b16 v19, 8, v19 op_sel:[1,1] op_sel_hi:[0,1]
	v_lshrrev_b32_e32 v23, 16, v22
	v_cvt_f16_i16_sdwa v22, sext(v22) dst_sel:DWORD dst_unused:UNUSED_PAD src0_sel:BYTE_0
	v_cvt_f16_i16_sdwa v23, sext(v23) dst_sel:DWORD dst_unused:UNUSED_PAD src0_sel:BYTE_0
	v_pack_b32_f16 v22, v22, v23
	v_lshrrev_b32_e32 v23, 16, v19
	v_cvt_f16_i16_sdwa v19, sext(v19) dst_sel:DWORD dst_unused:UNUSED_PAD src0_sel:BYTE_0
	v_pk_mul_f16 v22, v22, v18
	v_cvt_f16_i16_sdwa v23, sext(v23) dst_sel:DWORD dst_unused:UNUSED_PAD src0_sel:BYTE_0
	v_pk_fma_f16 v27, v22, v30, v27
	v_pack_b32_f16 v19, v19, v23
	v_pk_fma_f16 v28, v22, v31, v28
	v_pk_mul_f16 v18, v19, v18
	v_pk_fma_f16 v29, v18, v30, v29
	v_pk_fma_f16 v26, v18, v31, v26
	v_add_co_u32 v18, vcc_lo, v130, s28
	v_add_co_ci_u32_e64 v19, null, 0, v131, vcc_lo
	v_add_co_u32 v22, vcc_lo, v128, s28
	v_add_co_ci_u32_e64 v23, null, 0, v129, vcc_lo
	global_load_ushort v18, v[18:19], off
	v_mul_u32_u24_sdwa v30, v20, v233 dst_sel:DWORD dst_unused:UNUSED_PAD src0_sel:WORD_0 src1_sel:DWORD
	v_mul_u32_u24_sdwa v31, v24, v233 dst_sel:DWORD dst_unused:UNUSED_PAD src0_sel:WORD_0 src1_sel:DWORD
	global_load_dword v19, v[22:23], off offset:2
	v_mul_u32_u24_sdwa v20, v20, v233 dst_sel:DWORD dst_unused:UNUSED_PAD src0_sel:WORD_1 src1_sel:DWORD
	v_mul_u32_u24_sdwa v24, v24, v233 dst_sel:DWORD dst_unused:UNUSED_PAD src0_sel:WORD_1 src1_sel:DWORD
	s_waitcnt vmcnt(1)
	v_mul_u32_u24_e32 v18, 0x10001, v18
	s_waitcnt vmcnt(0)
	v_pk_lshrrev_b16 v22, 8, v19 op_sel:[1,0] op_sel_hi:[0,0]
	v_pk_lshrrev_b16 v19, 8, v19 op_sel:[1,1] op_sel_hi:[0,1]
	v_lshrrev_b32_e32 v23, 16, v22
	v_cvt_f16_i16_sdwa v22, sext(v22) dst_sel:DWORD dst_unused:UNUSED_PAD src0_sel:BYTE_0
	v_cvt_f16_i16_sdwa v23, sext(v23) dst_sel:DWORD dst_unused:UNUSED_PAD src0_sel:BYTE_0
	v_pack_b32_f16 v22, v22, v23
	v_lshrrev_b32_e32 v23, 16, v19
	v_cvt_f16_i16_sdwa v19, sext(v19) dst_sel:DWORD dst_unused:UNUSED_PAD src0_sel:BYTE_0
	v_pk_mul_f16 v22, v22, v18
	v_cvt_f16_i16_sdwa v23, sext(v23) dst_sel:DWORD dst_unused:UNUSED_PAD src0_sel:BYTE_0
	v_pk_fma_f16 v27, v22, v30, v27
	v_pack_b32_f16 v19, v19, v23
	v_pk_fma_f16 v28, v22, v31, v28
	v_pk_mul_f16 v18, v19, v18
	v_pk_fma_f16 v29, v18, v30, v29
	v_pk_fma_f16 v26, v18, v31, v26
	v_add_co_u32 v18, vcc_lo, v126, s28
	v_add_co_ci_u32_e64 v19, null, 0, v127, vcc_lo
	v_add_co_u32 v22, vcc_lo, v124, s28
	v_add_co_ci_u32_e64 v23, null, 0, v125, vcc_lo
	global_load_ushort v18, v[18:19], off
	v_mul_u32_u24_sdwa v30, v21, v233 dst_sel:DWORD dst_unused:UNUSED_PAD src0_sel:WORD_0 src1_sel:DWORD
	v_mul_u32_u24_sdwa v31, v25, v233 dst_sel:DWORD dst_unused:UNUSED_PAD src0_sel:WORD_0 src1_sel:DWORD
	global_load_dword v19, v[22:23], off offset:2
	v_mul_u32_u24_sdwa v21, v21, v233 dst_sel:DWORD dst_unused:UNUSED_PAD src0_sel:WORD_1 src1_sel:DWORD
	v_mul_u32_u24_sdwa v25, v25, v233 dst_sel:DWORD dst_unused:UNUSED_PAD src0_sel:WORD_1 src1_sel:DWORD
	s_waitcnt vmcnt(1)
	v_mul_u32_u24_e32 v18, 0x10001, v18
	s_waitcnt vmcnt(0)
	v_pk_lshrrev_b16 v22, 8, v19 op_sel:[1,0] op_sel_hi:[0,0]
	v_pk_lshrrev_b16 v19, 8, v19 op_sel:[1,1] op_sel_hi:[0,1]
	v_lshrrev_b32_e32 v23, 16, v22
	v_cvt_f16_i16_sdwa v22, sext(v22) dst_sel:DWORD dst_unused:UNUSED_PAD src0_sel:BYTE_0
	v_cvt_f16_i16_sdwa v23, sext(v23) dst_sel:DWORD dst_unused:UNUSED_PAD src0_sel:BYTE_0
	v_pack_b32_f16 v22, v22, v23
	v_lshrrev_b32_e32 v23, 16, v19
	v_cvt_f16_i16_sdwa v19, sext(v19) dst_sel:DWORD dst_unused:UNUSED_PAD src0_sel:BYTE_0
	v_pk_mul_f16 v22, v22, v18
	v_cvt_f16_i16_sdwa v23, sext(v23) dst_sel:DWORD dst_unused:UNUSED_PAD src0_sel:BYTE_0
	v_pk_fma_f16 v27, v22, v20, v27
	v_pack_b32_f16 v19, v19, v23
	v_pk_fma_f16 v28, v22, v24, v28
	v_pk_mul_f16 v18, v19, v18
	v_pk_fma_f16 v29, v18, v20, v29
	v_pk_fma_f16 v26, v18, v24, v26
	v_add_co_u32 v18, vcc_lo, v122, s28
	v_add_co_ci_u32_e64 v19, null, 0, v123, vcc_lo
	v_add_co_u32 v22, vcc_lo, v120, s28
	v_add_co_ci_u32_e64 v23, null, 0, v121, vcc_lo
	global_load_ushort v18, v[18:19], off
	global_load_dword v19, v[22:23], off offset:2
	s_waitcnt vmcnt(1)
	v_mul_u32_u24_e32 v18, 0x10001, v18
	s_waitcnt vmcnt(0)
	v_pk_lshrrev_b16 v20, 8, v19 op_sel:[1,0] op_sel_hi:[0,0]
	v_pk_lshrrev_b16 v19, 8, v19 op_sel:[1,1] op_sel_hi:[0,1]
	v_lshrrev_b32_e32 v22, 16, v20
	v_cvt_f16_i16_sdwa v20, sext(v20) dst_sel:DWORD dst_unused:UNUSED_PAD src0_sel:BYTE_0
	v_cvt_f16_i16_sdwa v22, sext(v22) dst_sel:DWORD dst_unused:UNUSED_PAD src0_sel:BYTE_0
	v_pack_b32_f16 v20, v20, v22
	v_pk_mul_f16 v22, v20, v18
	v_lshrrev_b32_e32 v20, 16, v19
	v_cvt_f16_i16_sdwa v19, sext(v19) dst_sel:DWORD dst_unused:UNUSED_PAD src0_sel:BYTE_0
	v_pk_fma_f16 v24, v22, v31, v28
	v_cvt_f16_i16_sdwa v20, sext(v20) dst_sel:DWORD dst_unused:UNUSED_PAD src0_sel:BYTE_0
	v_pack_b32_f16 v19, v19, v20
	v_pk_fma_f16 v20, v22, v30, v27
	v_pk_mul_f16 v18, v19, v18
	v_pk_fma_f16 v22, v18, v30, v29
	v_pk_fma_f16 v23, v18, v31, v26
	v_add_co_u32 v18, vcc_lo, v118, s28
	v_add_co_ci_u32_e64 v19, null, 0, v119, vcc_lo
	v_add_co_u32 v26, vcc_lo, v116, s28
	v_add_co_ci_u32_e64 v27, null, 0, v117, vcc_lo
	global_load_ushort v18, v[18:19], off
	v_add_co_u32 v90, vcc_lo, v90, s5
	global_load_dword v19, v[26:27], off offset:2
	v_add_co_ci_u32_e64 v91, null, 0, v91, vcc_lo
	v_add_co_u32 v80, vcc_lo, v80, s8
	v_add_co_ci_u32_e64 v81, null, s9, v81, vcc_lo
	v_add_co_u32 v92, vcc_lo, v92, s8
	;; [unrolled: 2-line block ×70, first 2 shown]
	v_add_co_ci_u32_e64 v229, null, 0, v229, vcc_lo
	s_waitcnt vmcnt(1)
	v_mul_u32_u24_e32 v18, 0x10001, v18
	s_waitcnt vmcnt(0)
	v_pk_lshrrev_b16 v26, 8, v19 op_sel:[1,0] op_sel_hi:[0,0]
	v_pk_lshrrev_b16 v19, 8, v19 op_sel:[1,1] op_sel_hi:[0,1]
	v_lshrrev_b32_e32 v27, 16, v26
	v_cvt_f16_i16_sdwa v26, sext(v26) dst_sel:DWORD dst_unused:UNUSED_PAD src0_sel:BYTE_0
	v_cvt_f16_i16_sdwa v27, sext(v27) dst_sel:DWORD dst_unused:UNUSED_PAD src0_sel:BYTE_0
	v_pack_b32_f16 v26, v26, v27
	v_lshrrev_b32_e32 v27, 16, v19
	v_cvt_f16_i16_sdwa v19, sext(v19) dst_sel:DWORD dst_unused:UNUSED_PAD src0_sel:BYTE_0
	v_pk_mul_f16 v26, v26, v18
	v_cvt_f16_i16_sdwa v27, sext(v27) dst_sel:DWORD dst_unused:UNUSED_PAD src0_sel:BYTE_0
	v_pack_b32_f16 v19, v19, v27
	v_pk_mul_f16 v27, v19, v18
	v_pk_fma_f16 v18, v26, v21, v20
	v_pk_fma_f16 v20, v26, v25, v24
	;; [unrolled: 1-line block ×4, first 2 shown]
	s_cbranch_scc1 .LBB19_28
; %bb.26:                               ;   in Loop: Header=BB19_17 Depth=1
	v_mov_b32_e32 v27, v70
	v_mov_b32_e32 v26, v71
	s_branch .LBB19_17
.LBB19_27:
	v_mov_b32_e32 v70, 0xfeffffff
	v_mov_b32_e32 v83, 0
	;; [unrolled: 1-line block ×4, first 2 shown]
	s_branch .LBB19_29
.LBB19_28:
	ds_write_b128 v76, v[18:21]
.LBB19_29:
	s_cmp_eq_u64 s[20:21], 0
	s_cselect_b32 s1, -1, 0
	s_cmp_lg_u32 s34, 0
	s_cselect_b32 s2, -1, 0
	s_or_b32 s1, s2, s1
	s_nor_b32 s0, s1, s0
	s_and_saveexec_b32 s1, s0
	s_cbranch_execz .LBB19_31
; %bb.30:
	s_ashr_i32 s39, s38, 31
	v_cmp_eq_u32_e32 vcc_lo, 1, v1
	s_lshl_b64 s[2:3], s[38:39], 2
	s_add_u32 s2, s20, s2
	s_addc_u32 s3, s21, s3
	v_cndmask_b32_e32 v2, v70, v71, vcc_lo
	s_load_dword s0, s[2:3], 0x0
	v_max_f32_e32 v3, v2, v2
	s_waitcnt lgkmcnt(0)
	v_max_f32_e64 v4, s0, s0
	v_max_f32_e32 v4, v4, v3
	v_sub_f32_e32 v5, s0, v4
	v_sub_f32_e32 v6, v2, v4
	v_cndmask_b32_e32 v71, v71, v4, vcc_lo
	v_mul_f32_e32 v2, 0x3fb8aa3b, v5
	v_mul_f32_e32 v3, 0x3fb8aa3b, v6
	v_cmp_ngt_f32_e64 s0, 0xc2ce8ed0, v5
	v_fma_f32 v7, 0x3fb8aa3b, v5, -v2
	v_rndne_f32_e32 v8, v2
	v_fma_f32 v9, 0x3fb8aa3b, v6, -v3
	v_rndne_f32_e32 v10, v3
	v_fmac_f32_e32 v7, 0x32a5705f, v5
	v_sub_f32_e32 v2, v2, v8
	v_fmac_f32_e32 v9, 0x32a5705f, v6
	v_sub_f32_e32 v3, v3, v10
	v_add_f32_e32 v2, v2, v7
	v_cvt_i32_f32_e32 v7, v8
	v_add_f32_e32 v3, v3, v9
	v_cvt_i32_f32_e32 v8, v10
	v_lshl_add_u32 v9, v1, 3, v76
	v_exp_f32_e32 v2, v2
	v_exp_f32_e32 v3, v3
	v_ldexp_f32 v7, v2, v7
	v_ldexp_f32 v8, v3, v8
	ds_read_b64 v[2:3], v9
	v_cndmask_b32_e64 v7, 0, v7, s0
	v_cmp_ngt_f32_e64 s0, 0xc2ce8ed0, v6
	v_cndmask_b32_e64 v8, 0, v8, s0
	v_cmp_nlt_f32_e64 s0, 0x42b17218, v5
	v_cndmask_b32_e64 v5, 0x7f800000, v7, s0
	v_cmp_nlt_f32_e64 s0, 0x42b17218, v6
	v_mov_b32_e32 v7, 0x10001
	v_cndmask_b32_e64 v6, 0x7f800000, v8, s0
	v_cmp_eq_u32_e64 s0, 0, v0
	v_cndmask_b32_e32 v8, v83, v82, vcc_lo
	v_cvt_f16_f32_e32 v10, v6
	v_cndmask_b32_e64 v5, 0, v5, s0
	v_cmp_eq_u32_e64 s0, 0, v1
	v_fmac_f32_e32 v5, v8, v6
	v_mul_u32_u24_sdwa v6, v10, v7 dst_sel:DWORD dst_unused:UNUSED_PAD src0_sel:WORD_0 src1_sel:DWORD
	v_cndmask_b32_e64 v70, v70, v4, s0
	v_cndmask_b32_e32 v82, v82, v5, vcc_lo
	s_waitcnt lgkmcnt(0)
	v_pk_mul_f16 v2, v2, v6
	v_pk_mul_f16 v3, v3, v6
	v_cndmask_b32_e64 v83, v83, v5, s0
	ds_write_b64 v9, v[2:3]
.LBB19_31:
	s_or_b32 exec_lo, exec_lo, s1
	v_add_nc_u32_e32 v4, 0x500, v74
	v_or_b32_e32 v10, 0x400, v74
	s_mov_b32 s0, exec_lo
	v_cmpx_eq_u32_e32 0, v1
	s_cbranch_execz .LBB19_33
; %bb.32:
	v_mov_b32_e32 v2, 0xfeffffff
	v_mov_b32_e32 v3, 0
	ds_write2_b32 v10, v2, v2 offset1:32
	ds_write2_b32 v4, v3, v3 offset1:32
.LBB19_33:
	s_or_b32 exec_lo, exec_lo, s0
	v_cmp_eq_u32_e64 s0, 0, v0
	s_waitcnt lgkmcnt(0)
	s_barrier
	buffer_gl0_inv
	s_and_saveexec_b32 s1, s0
; %bb.34:
	v_lshlrev_b32_e32 v2, 2, v1
	v_add_nc_u32_e32 v2, 0x400, v2
	ds_write2_b32 v2, v70, v71 offset1:32
; %bb.35:
	s_or_b32 exec_lo, exec_lo, s1
	s_cmp_lt_i32 s30, s36
	s_waitcnt lgkmcnt(0)
	s_barrier
	buffer_gl0_inv
	s_cbranch_scc1 .LBB19_37
; %bb.36:
	s_load_dword s2, s[6:7], 0xd4
	s_cbranch_execz .LBB19_38
	s_branch .LBB19_45
.LBB19_37:
                                        ; implicit-def: $sgpr2
.LBB19_38:
	ds_read_b32 v2, v10
	v_xor_b32_e32 v3, 16, v78
	v_xor_b32_e32 v6, 8, v78
	;; [unrolled: 1-line block ×5, first 2 shown]
	v_cmp_gt_i32_e32 vcc_lo, 32, v3
	s_waitcnt lgkmcnt(0)
	s_load_dword s2, s[6:7], 0xd4
	v_mov_b32_e32 v15, 0x10001
	v_lshl_add_u32 v1, v1, 2, 0x500
	v_cndmask_b32_e32 v3, v78, v3, vcc_lo
	v_cmp_gt_i32_e32 vcc_lo, 32, v6
	v_lshlrev_b32_e32 v5, 2, v3
	v_cndmask_b32_e32 v6, v78, v6, vcc_lo
	v_cmp_gt_i32_e32 vcc_lo, 32, v7
	ds_bpermute_b32 v3, v5, v2
	v_max_f32_e32 v2, v2, v2
	v_lshlrev_b32_e32 v6, 2, v6
	v_cndmask_b32_e32 v7, v78, v7, vcc_lo
	v_cmp_gt_i32_e32 vcc_lo, 32, v8
	v_lshlrev_b32_e32 v7, 2, v7
	v_cndmask_b32_e32 v8, v78, v8, vcc_lo
	v_cmp_gt_i32_e32 vcc_lo, 32, v9
	v_lshlrev_b32_e32 v8, 2, v8
	v_cndmask_b32_e32 v9, v78, v9, vcc_lo
	v_lshlrev_b32_e32 v9, 2, v9
	s_waitcnt lgkmcnt(0)
	v_max_f32_e32 v3, v3, v3
	v_max_f32_e32 v2, v2, v3
	ds_bpermute_b32 v3, v6, v2
	s_waitcnt lgkmcnt(0)
	v_max_f32_e32 v3, v3, v3
	v_max_f32_e32 v2, v2, v3
	ds_bpermute_b32 v3, v7, v2
	;; [unrolled: 4-line block ×4, first 2 shown]
	s_waitcnt lgkmcnt(0)
	v_max_f32_e32 v3, v3, v3
	v_max_f32_e32 v2, v2, v3
	v_sub_f32_e32 v3, v70, v2
	v_mul_f32_e32 v11, 0x3fb8aa3b, v3
	v_cmp_ngt_f32_e32 vcc_lo, 0xc2ce8ed0, v3
	v_fma_f32 v12, 0x3fb8aa3b, v3, -v11
	v_rndne_f32_e32 v13, v11
	v_fmamk_f32 v12, v3, 0x32a5705f, v12
	v_sub_f32_e32 v11, v11, v13
	v_add_f32_e32 v11, v11, v12
	v_cvt_i32_f32_e32 v12, v13
	ds_read_b64 v[13:14], v76
	v_exp_f32_e32 v11, v11
	v_ldexp_f32 v11, v11, v12
	v_cndmask_b32_e32 v11, 0, v11, vcc_lo
	v_cmp_nlt_f32_e32 vcc_lo, 0x42b17218, v3
	v_cndmask_b32_e32 v11, 0x7f800000, v11, vcc_lo
	v_mul_f32_e32 v3, v83, v11
	ds_bpermute_b32 v3, v5, v3
	s_waitcnt lgkmcnt(0)
	v_fmac_f32_e32 v3, v83, v11
	v_cvt_f16_f32_e32 v11, v11
	ds_bpermute_b32 v12, v6, v3
	v_mul_u32_u24_sdwa v11, v11, v15 dst_sel:DWORD dst_unused:UNUSED_PAD src0_sel:WORD_0 src1_sel:DWORD
	v_lshlrev_b32_e32 v15, 3, v0
	v_pk_mul_f16 v13, v13, v11
	v_pk_mul_f16 v14, v14, v11
	v_add_nc_u32_e32 v11, v72, v15
	ds_write_b64 v76, v[13:14]
	ds_write_b64 v11, v[13:14]
	s_waitcnt lgkmcnt(2)
	v_add_f32_e32 v3, v3, v12
	ds_bpermute_b32 v12, v7, v3
	s_waitcnt lgkmcnt(0)
	v_add_f32_e32 v3, v3, v12
	ds_bpermute_b32 v12, v8, v3
	;; [unrolled: 3-line block ×3, first 2 shown]
	s_and_saveexec_b32 s1, s0
	s_cbranch_execz .LBB19_40
; %bb.39:
	s_waitcnt lgkmcnt(0)
	v_add_f32_e32 v3, v3, v12
	ds_write_b32 v1, v3
.LBB19_40:
	s_or_b32 exec_lo, exec_lo, s1
	s_waitcnt lgkmcnt(0)
	s_barrier
	buffer_gl0_inv
	ds_read_b32 v3, v4
	ds_read_u16 v12, v75
	ds_read_u16 v13, v75 offset:256
	ds_read_u16 v14, v75 offset:512
	;; [unrolled: 1-line block ×3, first 2 shown]
	s_cmp_eq_u32 s2, 1
	s_mul_i32 s3, s33, s36
	s_cselect_b32 s1, -1, 0
	s_add_i32 s3, s30, s3
	s_mul_i32 s3, s3, s37
	s_add_i32 s3, s3, s38
	s_mul_i32 s4, s2, s3
	s_add_i32 s4, s4, s34
	s_waitcnt lgkmcnt(4)
	ds_bpermute_b32 v16, v5, v3
	s_waitcnt lgkmcnt(4)
	v_cvt_f32_f16_e32 v12, v12
	s_waitcnt lgkmcnt(3)
	v_cvt_f32_f16_e32 v13, v13
	;; [unrolled: 2-line block ×3, first 2 shown]
	v_add_f32_e32 v12, 0, v12
	v_add_f32_e32 v12, v12, v13
	s_waitcnt lgkmcnt(1)
	v_cvt_f32_f16_e32 v13, v15
	v_add_f32_e32 v12, v12, v14
	s_waitcnt lgkmcnt(0)
	v_add_f32_e32 v3, v3, v16
	v_add_f32_e32 v14, v12, v13
	ds_bpermute_b32 v16, v6, v3
	s_waitcnt lgkmcnt(0)
	v_add_f32_e32 v3, v3, v16
	ds_bpermute_b32 v16, v7, v3
	s_waitcnt lgkmcnt(0)
	;; [unrolled: 3-line block ×4, first 2 shown]
	v_add_f32_e32 v83, v3, v16
	v_div_scale_f32 v3, null, v83, v83, v14
	v_div_scale_f32 v15, vcc_lo, v14, v83, v14
	v_rcp_f32_e32 v12, v3
	v_fma_f32 v13, -v3, v12, 1.0
	v_fmac_f32_e32 v12, v13, v12
	v_mul_f32_e32 v13, v15, v12
	v_fma_f32 v16, -v3, v13, v15
	v_fmac_f32_e32 v13, v16, v12
	v_fma_f32 v3, -v3, v13, v15
	v_div_fmas_f32 v3, v3, v12, v13
	v_mov_b32_e32 v13, 0
	v_lshl_or_b32 v12, s4, 7, v73
	s_or_b32 s4, s30, 1
	v_div_fixup_f32 v3, v3, v83, v14
	s_cmp_ge_i32 s4, s36
	v_lshlrev_b64 v[12:13], 2, v[12:13]
	v_cndmask_b32_e64 v14, v14, v3, s1
	v_mov_b32_e32 v3, v71
	v_add_co_u32 v12, vcc_lo, s24, v12
	v_add_co_ci_u32_e64 v13, null, s25, v13, vcc_lo
	global_store_dword v[12:13], v14, off
	s_waitcnt_vscnt null, 0x0
	s_barrier
	buffer_gl0_inv
	s_cbranch_scc1 .LBB19_44
; %bb.41:
	ds_read_b32 v3, v10 offset:128
	v_mov_b32_e32 v16, 0x10001
	s_waitcnt lgkmcnt(0)
	ds_bpermute_b32 v10, v5, v3
	v_max_f32_e32 v3, v3, v3
	s_waitcnt lgkmcnt(0)
	v_max_f32_e32 v10, v10, v10
	v_max_f32_e32 v3, v3, v10
	ds_bpermute_b32 v10, v6, v3
	s_waitcnt lgkmcnt(0)
	v_max_f32_e32 v10, v10, v10
	v_max_f32_e32 v3, v3, v10
	ds_bpermute_b32 v10, v7, v3
	;; [unrolled: 4-line block ×4, first 2 shown]
	s_waitcnt lgkmcnt(0)
	v_max_f32_e32 v10, v10, v10
	v_max_f32_e32 v3, v3, v10
	v_sub_f32_e32 v10, v71, v3
	v_mul_f32_e32 v12, 0x3fb8aa3b, v10
	v_cmp_ngt_f32_e32 vcc_lo, 0xc2ce8ed0, v10
	v_fma_f32 v13, 0x3fb8aa3b, v10, -v12
	v_rndne_f32_e32 v14, v12
	v_fmamk_f32 v13, v10, 0x32a5705f, v13
	v_sub_f32_e32 v12, v12, v14
	v_add_f32_e32 v12, v12, v13
	v_cvt_i32_f32_e32 v13, v14
	v_exp_f32_e32 v12, v12
	v_ldexp_f32 v12, v12, v13
	ds_read_b64 v[13:14], v76 offset:8
	v_cndmask_b32_e32 v12, 0, v12, vcc_lo
	v_cmp_nlt_f32_e32 vcc_lo, 0x42b17218, v10
	v_cndmask_b32_e32 v15, 0x7f800000, v12, vcc_lo
	v_mul_f32_e32 v10, v82, v15
	ds_bpermute_b32 v10, v5, v10
	s_waitcnt lgkmcnt(0)
	v_fmac_f32_e32 v10, v82, v15
	v_cvt_f16_f32_e32 v15, v15
	ds_bpermute_b32 v12, v6, v10
	v_mul_u32_u24_sdwa v15, v15, v16 dst_sel:DWORD dst_unused:UNUSED_PAD src0_sel:WORD_0 src1_sel:DWORD
	v_pk_mul_f16 v13, v13, v15
	v_pk_mul_f16 v14, v14, v15
	ds_write_b64 v76, v[13:14] offset:8
	ds_write_b64 v11, v[13:14]
	s_waitcnt lgkmcnt(2)
	v_add_f32_e32 v10, v10, v12
	ds_bpermute_b32 v12, v7, v10
	s_waitcnt lgkmcnt(0)
	v_add_f32_e32 v10, v10, v12
	ds_bpermute_b32 v12, v8, v10
	;; [unrolled: 3-line block ×3, first 2 shown]
	s_and_saveexec_b32 s4, s0
	s_cbranch_execz .LBB19_43
; %bb.42:
	s_waitcnt lgkmcnt(0)
	v_add_f32_e32 v10, v10, v12
	ds_write_b32 v1, v10 offset:128
.LBB19_43:
	s_or_b32 exec_lo, exec_lo, s4
	s_waitcnt lgkmcnt(0)
	s_barrier
	buffer_gl0_inv
	ds_read_b32 v1, v4 offset:128
	ds_read_u16 v4, v75
	ds_read_u16 v10, v75 offset:256
	ds_read_u16 v11, v75 offset:512
	;; [unrolled: 1-line block ×3, first 2 shown]
	s_add_i32 s3, s3, s37
	s_mul_i32 s0, s2, s3
	s_add_i32 s0, s0, s34
	s_waitcnt lgkmcnt(4)
	ds_bpermute_b32 v5, v5, v1
	s_waitcnt lgkmcnt(4)
	v_cvt_f32_f16_e32 v4, v4
	v_add_f32_e32 v4, 0, v4
	s_waitcnt lgkmcnt(0)
	v_add_f32_e32 v1, v1, v5
	ds_bpermute_b32 v5, v6, v1
	v_cvt_f32_f16_e32 v6, v10
	v_add_f32_e32 v4, v4, v6
	v_cvt_f32_f16_e32 v6, v12
	s_waitcnt lgkmcnt(0)
	v_add_f32_e32 v1, v1, v5
	ds_bpermute_b32 v5, v7, v1
	v_cvt_f32_f16_e32 v7, v11
	v_add_f32_e32 v4, v4, v7
	v_add_f32_e32 v6, v4, v6
	s_waitcnt lgkmcnt(0)
	v_add_f32_e32 v1, v1, v5
	ds_bpermute_b32 v5, v8, v1
	s_waitcnt lgkmcnt(0)
	v_add_f32_e32 v1, v1, v5
	ds_bpermute_b32 v5, v9, v1
	s_waitcnt lgkmcnt(0)
	v_add_f32_e32 v82, v1, v5
	v_div_scale_f32 v1, null, v82, v82, v6
	v_div_scale_f32 v5, vcc_lo, v6, v82, v6
	v_rcp_f32_e32 v7, v1
	v_fma_f32 v4, -v1, v7, 1.0
	v_fmac_f32_e32 v7, v4, v7
	v_mul_f32_e32 v8, v5, v7
	v_fma_f32 v4, -v1, v8, v5
	v_fmac_f32_e32 v8, v4, v7
	v_lshl_or_b32 v4, s0, 7, v73
	v_fma_f32 v1, -v1, v8, v5
	v_mov_b32_e32 v5, 0
	v_div_fmas_f32 v1, v1, v7, v8
	v_lshlrev_b64 v[4:5], 2, v[4:5]
	v_div_fixup_f32 v1, v1, v82, v6
	v_add_co_u32 v4, vcc_lo, s24, v4
	v_add_co_ci_u32_e64 v5, null, s25, v5, vcc_lo
	v_cndmask_b32_e64 v1, v6, v1, s1
	global_store_dword v[4:5], v1, off
.LBB19_44:
	v_mov_b32_e32 v71, v3
	v_mov_b32_e32 v70, v2
.LBB19_45:
	v_or_b32_e32 v0, s30, v0
	v_cmp_gt_u32_e32 vcc_lo, 2, v73
	s_waitcnt lgkmcnt(0)
	s_cmp_lg_u32 s2, 1
	s_cselect_b32 s1, -1, 0
	v_cmp_gt_i32_e64 s0, s36, v0
	s_and_b32 s1, s1, vcc_lo
	s_and_b32 s0, s1, s0
	s_and_saveexec_b32 s1, s0
	s_cbranch_execz .LBB19_47
; %bb.46:
	v_mad_u64_u32 v[0:1], null, s33, s36, v[0:1]
	v_cmp_eq_u32_e32 vcc_lo, 1, v73
	v_cndmask_b32_e32 v2, v70, v71, vcc_lo
	v_mad_u64_u32 v[0:1], null, v0, s37, s[38:39]
	v_cndmask_b32_e32 v3, v83, v82, vcc_lo
	v_mad_u64_u32 v[0:1], null, s2, v0, s[34:35]
	v_mov_b32_e32 v1, 0
	v_lshlrev_b64 v[0:1], 3, v[0:1]
	v_add_co_u32 v0, vcc_lo, s26, v0
	v_add_co_ci_u32_e64 v1, null, s27, v1, vcc_lo
	global_store_dwordx2 v[0:1], v[2:3], off
.LBB19_47:
	s_endpgm
	.section	.rodata,"a",@progbits
	.p2align	6, 0x0
	.amdhsa_kernel _ZL18flash_attn_ext_vecILi128ELi2EL9ggml_type7ELS0_8ELb0EEvPKcS2_S2_S2_S2_PKiPfP15HIP_vector_typeIfLj2EEffffjfiS6_IjLj3EEiiiiiiiiiiiliiliiiiil
		.amdhsa_group_segment_fixed_size 3584
		.amdhsa_private_segment_fixed_size 0
		.amdhsa_kernarg_size 464
		.amdhsa_user_sgpr_count 8
		.amdhsa_user_sgpr_private_segment_buffer 1
		.amdhsa_user_sgpr_dispatch_ptr 1
		.amdhsa_user_sgpr_queue_ptr 0
		.amdhsa_user_sgpr_kernarg_segment_ptr 1
		.amdhsa_user_sgpr_dispatch_id 0
		.amdhsa_user_sgpr_flat_scratch_init 0
		.amdhsa_user_sgpr_private_segment_size 0
		.amdhsa_wavefront_size32 1
		.amdhsa_uses_dynamic_stack 0
		.amdhsa_system_sgpr_private_segment_wavefront_offset 0
		.amdhsa_system_sgpr_workgroup_id_x 1
		.amdhsa_system_sgpr_workgroup_id_y 1
		.amdhsa_system_sgpr_workgroup_id_z 1
		.amdhsa_system_sgpr_workgroup_info 0
		.amdhsa_system_vgpr_workitem_id 2
		.amdhsa_next_free_vgpr 250
		.amdhsa_next_free_sgpr 50
		.amdhsa_reserve_vcc 1
		.amdhsa_reserve_flat_scratch 0
		.amdhsa_float_round_mode_32 0
		.amdhsa_float_round_mode_16_64 0
		.amdhsa_float_denorm_mode_32 3
		.amdhsa_float_denorm_mode_16_64 3
		.amdhsa_dx10_clamp 1
		.amdhsa_ieee_mode 1
		.amdhsa_fp16_overflow 0
		.amdhsa_workgroup_processor_mode 1
		.amdhsa_memory_ordered 1
		.amdhsa_forward_progress 1
		.amdhsa_shared_vgpr_count 0
		.amdhsa_exception_fp_ieee_invalid_op 0
		.amdhsa_exception_fp_denorm_src 0
		.amdhsa_exception_fp_ieee_div_zero 0
		.amdhsa_exception_fp_ieee_overflow 0
		.amdhsa_exception_fp_ieee_underflow 0
		.amdhsa_exception_fp_ieee_inexact 0
		.amdhsa_exception_int_div_zero 0
	.end_amdhsa_kernel
	.section	.text._ZL18flash_attn_ext_vecILi128ELi2EL9ggml_type7ELS0_8ELb0EEvPKcS2_S2_S2_S2_PKiPfP15HIP_vector_typeIfLj2EEffffjfiS6_IjLj3EEiiiiiiiiiiiliiliiiiil,"axG",@progbits,_ZL18flash_attn_ext_vecILi128ELi2EL9ggml_type7ELS0_8ELb0EEvPKcS2_S2_S2_S2_PKiPfP15HIP_vector_typeIfLj2EEffffjfiS6_IjLj3EEiiiiiiiiiiiliiliiiiil,comdat
.Lfunc_end19:
	.size	_ZL18flash_attn_ext_vecILi128ELi2EL9ggml_type7ELS0_8ELb0EEvPKcS2_S2_S2_S2_PKiPfP15HIP_vector_typeIfLj2EEffffjfiS6_IjLj3EEiiiiiiiiiiiliiliiiiil, .Lfunc_end19-_ZL18flash_attn_ext_vecILi128ELi2EL9ggml_type7ELS0_8ELb0EEvPKcS2_S2_S2_S2_PKiPfP15HIP_vector_typeIfLj2EEffffjfiS6_IjLj3EEiiiiiiiiiiiliiliiiiil
                                        ; -- End function
	.set _ZL18flash_attn_ext_vecILi128ELi2EL9ggml_type7ELS0_8ELb0EEvPKcS2_S2_S2_S2_PKiPfP15HIP_vector_typeIfLj2EEffffjfiS6_IjLj3EEiiiiiiiiiiiliiliiiiil.num_vgpr, 250
	.set _ZL18flash_attn_ext_vecILi128ELi2EL9ggml_type7ELS0_8ELb0EEvPKcS2_S2_S2_S2_PKiPfP15HIP_vector_typeIfLj2EEffffjfiS6_IjLj3EEiiiiiiiiiiiliiliiiiil.num_agpr, 0
	.set _ZL18flash_attn_ext_vecILi128ELi2EL9ggml_type7ELS0_8ELb0EEvPKcS2_S2_S2_S2_PKiPfP15HIP_vector_typeIfLj2EEffffjfiS6_IjLj3EEiiiiiiiiiiiliiliiiiil.numbered_sgpr, 50
	.set _ZL18flash_attn_ext_vecILi128ELi2EL9ggml_type7ELS0_8ELb0EEvPKcS2_S2_S2_S2_PKiPfP15HIP_vector_typeIfLj2EEffffjfiS6_IjLj3EEiiiiiiiiiiiliiliiiiil.num_named_barrier, 0
	.set _ZL18flash_attn_ext_vecILi128ELi2EL9ggml_type7ELS0_8ELb0EEvPKcS2_S2_S2_S2_PKiPfP15HIP_vector_typeIfLj2EEffffjfiS6_IjLj3EEiiiiiiiiiiiliiliiiiil.private_seg_size, 0
	.set _ZL18flash_attn_ext_vecILi128ELi2EL9ggml_type7ELS0_8ELb0EEvPKcS2_S2_S2_S2_PKiPfP15HIP_vector_typeIfLj2EEffffjfiS6_IjLj3EEiiiiiiiiiiiliiliiiiil.uses_vcc, 1
	.set _ZL18flash_attn_ext_vecILi128ELi2EL9ggml_type7ELS0_8ELb0EEvPKcS2_S2_S2_S2_PKiPfP15HIP_vector_typeIfLj2EEffffjfiS6_IjLj3EEiiiiiiiiiiiliiliiiiil.uses_flat_scratch, 0
	.set _ZL18flash_attn_ext_vecILi128ELi2EL9ggml_type7ELS0_8ELb0EEvPKcS2_S2_S2_S2_PKiPfP15HIP_vector_typeIfLj2EEffffjfiS6_IjLj3EEiiiiiiiiiiiliiliiiiil.has_dyn_sized_stack, 0
	.set _ZL18flash_attn_ext_vecILi128ELi2EL9ggml_type7ELS0_8ELb0EEvPKcS2_S2_S2_S2_PKiPfP15HIP_vector_typeIfLj2EEffffjfiS6_IjLj3EEiiiiiiiiiiiliiliiiiil.has_recursion, 0
	.set _ZL18flash_attn_ext_vecILi128ELi2EL9ggml_type7ELS0_8ELb0EEvPKcS2_S2_S2_S2_PKiPfP15HIP_vector_typeIfLj2EEffffjfiS6_IjLj3EEiiiiiiiiiiiliiliiiiil.has_indirect_call, 0
	.section	.AMDGPU.csdata,"",@progbits
; Kernel info:
; codeLenInByte = 21480
; TotalNumSgprs: 52
; NumVgprs: 250
; ScratchSize: 0
; MemoryBound: 0
; FloatMode: 240
; IeeeMode: 1
; LDSByteSize: 3584 bytes/workgroup (compile time only)
; SGPRBlocks: 0
; VGPRBlocks: 31
; NumSGPRsForWavesPerEU: 52
; NumVGPRsForWavesPerEU: 250
; Occupancy: 4
; WaveLimiterHint : 0
; COMPUTE_PGM_RSRC2:SCRATCH_EN: 0
; COMPUTE_PGM_RSRC2:USER_SGPR: 8
; COMPUTE_PGM_RSRC2:TRAP_HANDLER: 0
; COMPUTE_PGM_RSRC2:TGID_X_EN: 1
; COMPUTE_PGM_RSRC2:TGID_Y_EN: 1
; COMPUTE_PGM_RSRC2:TGID_Z_EN: 1
; COMPUTE_PGM_RSRC2:TIDIG_COMP_CNT: 2
	.section	.text._ZL33flash_attn_stream_k_fixup_uniformILi128ELi2ELi1EEvPfPK15HIP_vector_typeIfLj2EEiiiiiiS1_IjLj3EES5_S5_,"axG",@progbits,_ZL33flash_attn_stream_k_fixup_uniformILi128ELi2ELi1EEvPfPK15HIP_vector_typeIfLj2EEiiiiiiS1_IjLj3EES5_S5_,comdat
	.globl	_ZL33flash_attn_stream_k_fixup_uniformILi128ELi2ELi1EEvPfPK15HIP_vector_typeIfLj2EEiiiiiiS1_IjLj3EES5_S5_ ; -- Begin function _ZL33flash_attn_stream_k_fixup_uniformILi128ELi2ELi1EEvPfPK15HIP_vector_typeIfLj2EEiiiiiiS1_IjLj3EES5_S5_
	.p2align	8
	.type	_ZL33flash_attn_stream_k_fixup_uniformILi128ELi2ELi1EEvPfPK15HIP_vector_typeIfLj2EEiiiiiiS1_IjLj3EES5_S5_,@function
_ZL33flash_attn_stream_k_fixup_uniformILi128ELi2ELi1EEvPfPK15HIP_vector_typeIfLj2EEiiiiiiS1_IjLj3EES5_S5_: ; @_ZL33flash_attn_stream_k_fixup_uniformILi128ELi2ELi1EEvPfPK15HIP_vector_typeIfLj2EEiiiiiiS1_IjLj3EES5_S5_
; %bb.0:
	s_clause 0x2
	s_load_dwordx8 s[12:19], s[4:5], 0x1c
	s_load_dwordx4 s[20:23], s[4:5], 0x3c
	s_load_dwordx2 s[10:11], s[4:5], 0x10
	s_waitcnt lgkmcnt(0)
	s_mul_hi_u32 s0, s15, s6
	s_add_i32 s0, s6, s0
	s_lshr_b32 s0, s0, s16
	s_mul_i32 s1, s0, s17
	s_sub_i32 s2, s6, s1
	s_mul_hi_u32 s1, s2, s18
	s_add_i32 s1, s2, s1
	s_lshr_b32 s1, s1, s19
	s_mul_i32 s3, s1, s20
	s_sub_i32 s2, s2, s3
	;; [unrolled: 5-line block ×3, first 2 shown]
	s_lshl_b32 s2, s15, 1
	s_add_i32 s2, s2, s7
	s_cmp_lt_i32 s2, s10
	s_cselect_b32 s2, -1, 0
	s_add_i32 s3, s9, s8
	s_cmp_lt_i32 s3, s13
	s_cselect_b32 s3, -1, 0
	s_and_b32 s2, s2, s3
	s_andn2_b32 vcc_lo, exec_lo, s2
	s_cbranch_vccnz .LBB20_6
; %bb.1:
	s_mul_i32 s0, s0, s10
	s_mul_i32 s10, s1, s13
	s_add_i32 s0, s0, s7
	s_mul_i32 s0, s0, s11
	s_add_i32 s13, s0, s8
	s_load_dwordx4 s[0:3], s[4:5], 0x0
	s_add_i32 s4, s13, s10
	s_mul_i32 s5, s11, s15
	s_add_i32 s4, s4, s9
	s_lshl_b32 s5, s5, 8
	s_lshl_b32 s4, s4, 7
	s_add_i32 s8, s7, s8
	s_add_i32 s5, s5, s4
	s_mul_i32 s4, s14, s6
	v_or_b32_e32 v1, s5, v0
	s_add_i32 s9, s4, s14
	v_ashrrev_i32_e32 v2, 31, v1
	v_lshlrev_b64 v[1:2], 2, v[1:2]
	s_waitcnt lgkmcnt(0)
	v_add_co_u32 v1, vcc_lo, s0, v1
	v_add_co_ci_u32_e64 v2, null, s1, v2, vcc_lo
	s_lshl_b32 s0, s9, 1
	s_add_i32 s0, s8, s0
	global_load_dword v5, v[1:2], off
	s_add_i32 s0, s0, -2
	s_ashr_i32 s1, s0, 31
	s_lshl_b64 s[0:1], s[0:1], 3
	s_add_u32 s0, s2, s0
	s_addc_u32 s1, s3, s1
	s_add_i32 s5, s9, -2
	s_load_dword s10, s[0:1], 0x4
	s_cmp_lt_i32 s5, s4
	s_cbranch_scc1 .LBB20_4
; %bb.2:
	s_lshl_b32 s16, s12, 3
	s_load_dword s11, s[0:1], 0x0
	s_ashr_i32 s17, s16, 31
	s_waitcnt lgkmcnt(0)
	v_mov_b32_e32 v6, s10
	s_lshl_b64 s[0:1], s[16:17], 2
	s_add_u32 s5, s2, s0
	s_addc_u32 s7, s3, s1
	s_add_i32 s6, s6, 1
	s_lshl_b32 s1, s8, 7
	s_mul_i32 s0, s14, s6
	s_lshl_b32 s6, s0, 8
	s_lshl_b32 s0, s0, 1
	s_add_i32 s1, s1, s6
	s_add_i32 s0, s8, s0
	v_or_b32_e32 v0, s1, v0
	s_lshl_b32 s1, s12, 1
	s_add_i32 s6, s9, -1
	s_add_i32 s0, s0, s1
	v_add_nc_u32_e32 v3, 0xfffffe00, v0
	v_mov_b32_e32 v0, s11
	s_add_i32 s0, s0, -4
.LBB20_3:                               ; =>This Inner Loop Header: Depth=1
	v_ashrrev_i32_e32 v4, 31, v3
	s_ashr_i32 s1, s0, 31
	s_lshl_b64 s[8:9], s[0:1], 3
	s_add_u32 s8, s2, s8
	v_lshlrev_b64 v[7:8], 2, v[3:4]
	s_addc_u32 s9, s3, s9
	v_add_nc_u32_e32 v3, 0xffffff00, v3
	s_add_i32 s6, s6, -1
	s_add_i32 s0, s0, -2
	s_cmp_le_i32 s6, s4
	v_add_co_u32 v7, vcc_lo, s5, v7
	v_add_co_ci_u32_e64 v8, null, s7, v8, vcc_lo
	s_load_dwordx2 s[8:9], s[8:9], 0x0
	global_load_dword v4, v[7:8], off
	v_max_f32_e32 v7, v0, v0
	s_waitcnt lgkmcnt(0)
	v_max_f32_e64 v8, s8, s8
	v_max_f32_e32 v7, v7, v8
	v_sub_f32_e32 v8, s8, v7
	v_sub_f32_e32 v0, v0, v7
	v_mul_f32_e32 v9, 0x3fb8aa3b, v8
	v_mul_f32_e32 v12, 0x3fb8aa3b, v0
	v_cmp_ngt_f32_e32 vcc_lo, 0xc2ce8ed0, v8
	v_fma_f32 v10, 0x3fb8aa3b, v8, -v9
	v_rndne_f32_e32 v11, v9
	v_fma_f32 v13, 0x3fb8aa3b, v0, -v12
	v_rndne_f32_e32 v14, v12
	v_fmac_f32_e32 v10, 0x32a5705f, v8
	v_sub_f32_e32 v9, v9, v11
	v_fmac_f32_e32 v13, 0x32a5705f, v0
	v_cvt_i32_f32_e32 v11, v11
	v_add_f32_e32 v9, v9, v10
	v_sub_f32_e32 v10, v12, v14
	v_exp_f32_e32 v9, v9
	v_add_f32_e32 v10, v10, v13
	v_exp_f32_e32 v10, v10
	v_ldexp_f32 v9, v9, v11
	v_cvt_i32_f32_e32 v11, v14
	v_cndmask_b32_e32 v9, 0, v9, vcc_lo
	v_cmp_nlt_f32_e32 vcc_lo, 0x42b17218, v8
	v_ldexp_f32 v10, v10, v11
	v_mov_b32_e32 v11, v6
	v_cndmask_b32_e32 v9, 0x7f800000, v9, vcc_lo
	v_cmp_ngt_f32_e32 vcc_lo, 0xc2ce8ed0, v0
	v_cndmask_b32_e32 v10, 0, v10, vcc_lo
	v_cmp_le_f32_e32 vcc_lo, 0xc1a00000, v8
	v_cndmask_b32_e32 v8, 0, v9, vcc_lo
	v_cmp_nlt_f32_e32 vcc_lo, 0x42b17218, v0
	s_waitcnt vmcnt(1)
	v_mov_b32_e32 v9, v5
	v_cndmask_b32_e32 v5, 0x7f800000, v10, vcc_lo
	v_mul_f32_e32 v10, s9, v8
	v_cmp_le_f32_e32 vcc_lo, 0xc1a00000, v0
	v_mov_b32_e32 v0, v7
	v_mov_b32_e32 v6, v10
	v_cndmask_b32_e32 v12, 0, v5, vcc_lo
	v_fmac_f32_e32 v6, v11, v12
	s_waitcnt vmcnt(0)
	v_mul_f32_e32 v5, v4, v8
	v_fmac_f32_e32 v5, v9, v12
	s_cbranch_scc0 .LBB20_3
	s_branch .LBB20_5
.LBB20_4:
	s_waitcnt lgkmcnt(0)
	v_mov_b32_e32 v6, s10
.LBB20_5:
	s_waitcnt vmcnt(0)
	v_div_scale_f32 v0, null, v6, v6, v5
	v_rcp_f32_e32 v3, v0
	v_fma_f32 v4, -v0, v3, 1.0
	v_fmac_f32_e32 v3, v4, v3
	v_div_scale_f32 v4, vcc_lo, v5, v6, v5
	v_mul_f32_e32 v7, v4, v3
	v_fma_f32 v8, -v0, v7, v4
	v_fmac_f32_e32 v7, v8, v3
	v_fma_f32 v0, -v0, v7, v4
	v_div_fmas_f32 v0, v0, v3, v7
	v_div_fixup_f32 v0, v0, v6, v5
	global_store_dword v[1:2], v0, off
.LBB20_6:
	s_endpgm
	.section	.rodata,"a",@progbits
	.p2align	6, 0x0
	.amdhsa_kernel _ZL33flash_attn_stream_k_fixup_uniformILi128ELi2ELi1EEvPfPK15HIP_vector_typeIfLj2EEiiiiiiS1_IjLj3EES5_S5_
		.amdhsa_group_segment_fixed_size 0
		.amdhsa_private_segment_fixed_size 0
		.amdhsa_kernarg_size 76
		.amdhsa_user_sgpr_count 6
		.amdhsa_user_sgpr_private_segment_buffer 1
		.amdhsa_user_sgpr_dispatch_ptr 0
		.amdhsa_user_sgpr_queue_ptr 0
		.amdhsa_user_sgpr_kernarg_segment_ptr 1
		.amdhsa_user_sgpr_dispatch_id 0
		.amdhsa_user_sgpr_flat_scratch_init 0
		.amdhsa_user_sgpr_private_segment_size 0
		.amdhsa_wavefront_size32 1
		.amdhsa_uses_dynamic_stack 0
		.amdhsa_system_sgpr_private_segment_wavefront_offset 0
		.amdhsa_system_sgpr_workgroup_id_x 1
		.amdhsa_system_sgpr_workgroup_id_y 1
		.amdhsa_system_sgpr_workgroup_id_z 1
		.amdhsa_system_sgpr_workgroup_info 0
		.amdhsa_system_vgpr_workitem_id 0
		.amdhsa_next_free_vgpr 15
		.amdhsa_next_free_sgpr 24
		.amdhsa_reserve_vcc 1
		.amdhsa_reserve_flat_scratch 0
		.amdhsa_float_round_mode_32 0
		.amdhsa_float_round_mode_16_64 0
		.amdhsa_float_denorm_mode_32 3
		.amdhsa_float_denorm_mode_16_64 3
		.amdhsa_dx10_clamp 1
		.amdhsa_ieee_mode 1
		.amdhsa_fp16_overflow 0
		.amdhsa_workgroup_processor_mode 1
		.amdhsa_memory_ordered 1
		.amdhsa_forward_progress 1
		.amdhsa_shared_vgpr_count 0
		.amdhsa_exception_fp_ieee_invalid_op 0
		.amdhsa_exception_fp_denorm_src 0
		.amdhsa_exception_fp_ieee_div_zero 0
		.amdhsa_exception_fp_ieee_overflow 0
		.amdhsa_exception_fp_ieee_underflow 0
		.amdhsa_exception_fp_ieee_inexact 0
		.amdhsa_exception_int_div_zero 0
	.end_amdhsa_kernel
	.section	.text._ZL33flash_attn_stream_k_fixup_uniformILi128ELi2ELi1EEvPfPK15HIP_vector_typeIfLj2EEiiiiiiS1_IjLj3EES5_S5_,"axG",@progbits,_ZL33flash_attn_stream_k_fixup_uniformILi128ELi2ELi1EEvPfPK15HIP_vector_typeIfLj2EEiiiiiiS1_IjLj3EES5_S5_,comdat
.Lfunc_end20:
	.size	_ZL33flash_attn_stream_k_fixup_uniformILi128ELi2ELi1EEvPfPK15HIP_vector_typeIfLj2EEiiiiiiS1_IjLj3EES5_S5_, .Lfunc_end20-_ZL33flash_attn_stream_k_fixup_uniformILi128ELi2ELi1EEvPfPK15HIP_vector_typeIfLj2EEiiiiiiS1_IjLj3EES5_S5_
                                        ; -- End function
	.set _ZL33flash_attn_stream_k_fixup_uniformILi128ELi2ELi1EEvPfPK15HIP_vector_typeIfLj2EEiiiiiiS1_IjLj3EES5_S5_.num_vgpr, 15
	.set _ZL33flash_attn_stream_k_fixup_uniformILi128ELi2ELi1EEvPfPK15HIP_vector_typeIfLj2EEiiiiiiS1_IjLj3EES5_S5_.num_agpr, 0
	.set _ZL33flash_attn_stream_k_fixup_uniformILi128ELi2ELi1EEvPfPK15HIP_vector_typeIfLj2EEiiiiiiS1_IjLj3EES5_S5_.numbered_sgpr, 24
	.set _ZL33flash_attn_stream_k_fixup_uniformILi128ELi2ELi1EEvPfPK15HIP_vector_typeIfLj2EEiiiiiiS1_IjLj3EES5_S5_.num_named_barrier, 0
	.set _ZL33flash_attn_stream_k_fixup_uniformILi128ELi2ELi1EEvPfPK15HIP_vector_typeIfLj2EEiiiiiiS1_IjLj3EES5_S5_.private_seg_size, 0
	.set _ZL33flash_attn_stream_k_fixup_uniformILi128ELi2ELi1EEvPfPK15HIP_vector_typeIfLj2EEiiiiiiS1_IjLj3EES5_S5_.uses_vcc, 1
	.set _ZL33flash_attn_stream_k_fixup_uniformILi128ELi2ELi1EEvPfPK15HIP_vector_typeIfLj2EEiiiiiiS1_IjLj3EES5_S5_.uses_flat_scratch, 0
	.set _ZL33flash_attn_stream_k_fixup_uniformILi128ELi2ELi1EEvPfPK15HIP_vector_typeIfLj2EEiiiiiiS1_IjLj3EES5_S5_.has_dyn_sized_stack, 0
	.set _ZL33flash_attn_stream_k_fixup_uniformILi128ELi2ELi1EEvPfPK15HIP_vector_typeIfLj2EEiiiiiiS1_IjLj3EES5_S5_.has_recursion, 0
	.set _ZL33flash_attn_stream_k_fixup_uniformILi128ELi2ELi1EEvPfPK15HIP_vector_typeIfLj2EEiiiiiiS1_IjLj3EES5_S5_.has_indirect_call, 0
	.section	.AMDGPU.csdata,"",@progbits
; Kernel info:
; codeLenInByte = 828
; TotalNumSgprs: 26
; NumVgprs: 15
; ScratchSize: 0
; MemoryBound: 0
; FloatMode: 240
; IeeeMode: 1
; LDSByteSize: 0 bytes/workgroup (compile time only)
; SGPRBlocks: 0
; VGPRBlocks: 1
; NumSGPRsForWavesPerEU: 26
; NumVGPRsForWavesPerEU: 15
; Occupancy: 16
; WaveLimiterHint : 0
; COMPUTE_PGM_RSRC2:SCRATCH_EN: 0
; COMPUTE_PGM_RSRC2:USER_SGPR: 6
; COMPUTE_PGM_RSRC2:TRAP_HANDLER: 0
; COMPUTE_PGM_RSRC2:TGID_X_EN: 1
; COMPUTE_PGM_RSRC2:TGID_Y_EN: 1
; COMPUTE_PGM_RSRC2:TGID_Z_EN: 1
; COMPUTE_PGM_RSRC2:TIDIG_COMP_CNT: 0
	.section	.text._ZL33flash_attn_stream_k_fixup_generalILi128ELi2ELi1EEvPfPK15HIP_vector_typeIfLj2EEiiiiS1_IjLj3EES5_S5_S5_,"axG",@progbits,_ZL33flash_attn_stream_k_fixup_generalILi128ELi2ELi1EEvPfPK15HIP_vector_typeIfLj2EEiiiiS1_IjLj3EES5_S5_S5_,comdat
	.globl	_ZL33flash_attn_stream_k_fixup_generalILi128ELi2ELi1EEvPfPK15HIP_vector_typeIfLj2EEiiiiS1_IjLj3EES5_S5_S5_ ; -- Begin function _ZL33flash_attn_stream_k_fixup_generalILi128ELi2ELi1EEvPfPK15HIP_vector_typeIfLj2EEiiiiS1_IjLj3EES5_S5_S5_
	.p2align	8
	.type	_ZL33flash_attn_stream_k_fixup_generalILi128ELi2ELi1EEvPfPK15HIP_vector_typeIfLj2EEiiiiS1_IjLj3EES5_S5_S5_,@function
_ZL33flash_attn_stream_k_fixup_generalILi128ELi2ELi1EEvPfPK15HIP_vector_typeIfLj2EEiiiiS1_IjLj3EES5_S5_S5_: ; @_ZL33flash_attn_stream_k_fixup_generalILi128ELi2ELi1EEvPfPK15HIP_vector_typeIfLj2EEiiiiS1_IjLj3EES5_S5_S5_
; %bb.0:
	s_clause 0x1
	s_load_dwordx4 s[0:3], s[4:5], 0x10
	s_load_dword s9, s[4:5], 0x50
	s_mov_b32 s16, 0
	s_waitcnt lgkmcnt(0)
	s_mul_hi_i32 s17, s3, s6
	s_mul_i32 s18, s3, s6
	s_cmp_lg_u64 s[16:17], 0
	s_cbranch_scc0 .LBB21_21
; %bb.1:
	s_add_u32 s10, s9, 0
	s_addc_u32 s11, 0, 0
	s_xor_b64 s[10:11], s[10:11], 0
	v_cvt_f32_u32_e32 v1, s10
	v_cvt_f32_u32_e32 v2, s11
	s_sub_u32 s14, 0, s10
	s_subb_u32 s15, 0, s11
	v_fmamk_f32 v1, v2, 0x4f800000, v1
	v_rcp_f32_e32 v1, v1
	v_mul_f32_e32 v1, 0x5f7ffffc, v1
	v_mul_f32_e32 v2, 0x2f800000, v1
	v_trunc_f32_e32 v2, v2
	v_fmamk_f32 v1, v2, 0xcf800000, v1
	v_cvt_u32_f32_e32 v2, v2
	v_cvt_u32_f32_e32 v1, v1
	v_readfirstlane_b32 s12, v2
	v_readfirstlane_b32 s13, v1
	s_mul_i32 s19, s14, s12
	s_mul_hi_u32 s21, s14, s13
	s_mul_i32 s20, s15, s13
	s_add_i32 s19, s21, s19
	s_mul_i32 s22, s14, s13
	s_add_i32 s19, s19, s20
	s_mul_hi_u32 s21, s13, s22
	s_mul_i32 s24, s13, s19
	s_mul_hi_u32 s23, s12, s22
	s_mul_i32 s20, s12, s22
	s_mul_hi_u32 s22, s13, s19
	s_add_u32 s21, s21, s24
	s_addc_u32 s22, 0, s22
	s_mul_hi_u32 s25, s12, s19
	s_add_u32 s20, s21, s20
	s_mul_i32 s19, s12, s19
	s_addc_u32 s20, s22, s23
	s_addc_u32 s21, s25, 0
	s_add_u32 s19, s20, s19
	s_addc_u32 s20, 0, s21
	s_add_u32 s13, s13, s19
	s_cselect_b32 s19, -1, 0
	s_mul_hi_u32 s21, s14, s13
	s_cmp_lg_u32 s19, 0
	s_mul_i32 s19, s14, s13
	s_addc_u32 s12, s12, s20
	s_mul_i32 s15, s15, s13
	s_mul_i32 s14, s14, s12
	s_mul_hi_u32 s20, s13, s19
	s_add_i32 s14, s21, s14
	s_mul_hi_u32 s21, s12, s19
	s_add_i32 s14, s14, s15
	s_mul_i32 s15, s12, s19
	s_mul_i32 s23, s13, s14
	s_mul_hi_u32 s22, s13, s14
	s_add_u32 s20, s20, s23
	s_addc_u32 s22, 0, s22
	s_mul_hi_u32 s19, s12, s14
	s_add_u32 s15, s20, s15
	s_mul_i32 s14, s12, s14
	s_addc_u32 s15, s22, s21
	s_addc_u32 s19, s19, 0
	s_add_u32 s14, s15, s14
	s_addc_u32 s15, 0, s19
	s_add_u32 s19, s13, s14
	s_cselect_b32 s13, -1, 0
	s_cmp_lg_u32 s13, 0
	s_addc_u32 s20, s12, s15
	s_ashr_i32 s12, s17, 31
	s_add_u32 s14, s18, s12
	s_mov_b32 s13, s12
	s_addc_u32 s15, s17, s12
	s_xor_b64 s[14:15], s[14:15], s[12:13]
	s_mul_i32 s21, s14, s20
	s_mul_hi_u32 s22, s14, s19
	s_mul_hi_u32 s17, s14, s20
	;; [unrolled: 1-line block ×3, first 2 shown]
	s_mul_i32 s19, s15, s19
	s_add_u32 s21, s22, s21
	s_addc_u32 s17, 0, s17
	s_mul_hi_u32 s23, s15, s20
	s_add_u32 s19, s21, s19
	s_mul_i32 s20, s15, s20
	s_addc_u32 s17, s17, s24
	s_addc_u32 s19, s23, 0
	s_add_u32 s17, s17, s20
	s_addc_u32 s19, 0, s19
	s_mul_hi_u32 s20, s10, s17
	s_mul_i32 s21, s10, s19
	s_mul_i32 s22, s11, s17
	s_add_i32 s20, s20, s21
	s_mul_i32 s21, s10, s17
	s_add_i32 s20, s20, s22
	s_sub_i32 s22, s15, s20
	s_sub_u32 s14, s14, s21
	s_cselect_b32 s21, -1, 0
	s_cmp_lg_u32 s21, 0
	s_subb_u32 s22, s22, s11
	s_sub_u32 s23, s14, s10
	s_cselect_b32 s24, -1, 0
	s_cmp_lg_u32 s24, 0
	s_subb_u32 s22, s22, 0
	s_cmp_ge_u32 s22, s11
	s_cselect_b32 s24, -1, 0
	s_cmp_ge_u32 s23, s10
	s_cselect_b32 s23, -1, 0
	s_cmp_eq_u32 s22, s11
	s_cselect_b32 s22, s23, s24
	s_add_u32 s23, s17, 1
	s_addc_u32 s24, s19, 0
	s_add_u32 s25, s17, 2
	s_addc_u32 s26, s19, 0
	s_cmp_lg_u32 s22, 0
	s_cselect_b32 s22, s25, s23
	s_cselect_b32 s23, s26, s24
	s_cmp_lg_u32 s21, 0
	s_subb_u32 s15, s15, s20
	s_cmp_ge_u32 s15, s11
	s_cselect_b32 s20, -1, 0
	s_cmp_ge_u32 s14, s10
	s_cselect_b32 s10, -1, 0
	s_cmp_eq_u32 s15, s11
	s_cselect_b32 s10, s10, s20
	s_cmp_lg_u32 s10, 0
	s_cselect_b32 s11, s23, s19
	s_cselect_b32 s10, s22, s17
	s_xor_b64 s[12:13], s[12:13], 0
	s_xor_b64 s[10:11], s[10:11], s[12:13]
	s_sub_u32 s10, s10, s12
	s_load_dwordx4 s[12:15], s[4:5], 0x44
	s_andn2_b32 vcc_lo, exec_lo, s16
	s_cbranch_vccnz .LBB21_3
.LBB21_2:
	v_cvt_f32_u32_e32 v1, s9
	s_sub_i32 s11, 0, s9
	v_rcp_iflag_f32_e32 v1, v1
	v_mul_f32_e32 v1, 0x4f7ffffe, v1
	v_cvt_u32_f32_e32 v1, v1
	v_readfirstlane_b32 s10, v1
	s_mul_i32 s11, s11, s10
	s_mul_hi_u32 s11, s10, s11
	s_add_i32 s10, s10, s11
	s_mul_hi_u32 s10, s18, s10
	s_mul_i32 s11, s10, s9
	s_waitcnt lgkmcnt(0)
	s_add_i32 s15, s10, 1
	s_sub_i32 s11, s18, s11
	s_sub_i32 s16, s11, s9
	s_cmp_ge_u32 s11, s9
	s_cselect_b32 s10, s15, s10
	s_cselect_b32 s11, s16, s11
	s_add_i32 s15, s10, 1
	s_cmp_ge_u32 s11, s9
	s_cselect_b32 s10, s15, s10
.LBB21_3:
	s_add_i32 s11, s6, 1
	s_mov_b32 s16, 0
	s_mul_hi_i32 s17, s3, s11
	s_mul_i32 s11, s3, s11
	s_cmp_lg_u64 s[16:17], 0
	s_cbranch_scc0 .LBB21_22
; %bb.4:
	s_add_u32 s18, s9, 0
	s_addc_u32 s19, 0, 0
	s_xor_b64 s[18:19], s[18:19], 0
	v_cvt_f32_u32_e32 v1, s18
	v_cvt_f32_u32_e32 v2, s19
	s_sub_u32 s21, 0, s18
	s_subb_u32 s22, 0, s19
	v_fmamk_f32 v1, v2, 0x4f800000, v1
	v_rcp_f32_e32 v1, v1
	v_mul_f32_e32 v1, 0x5f7ffffc, v1
	v_mul_f32_e32 v2, 0x2f800000, v1
	v_trunc_f32_e32 v2, v2
	v_fmamk_f32 v1, v2, 0xcf800000, v1
	v_cvt_u32_f32_e32 v2, v2
	v_cvt_u32_f32_e32 v1, v1
	s_waitcnt lgkmcnt(0)
	v_readfirstlane_b32 s15, v2
	v_readfirstlane_b32 s20, v1
	s_mul_i32 s23, s21, s15
	s_mul_hi_u32 s25, s21, s20
	s_mul_i32 s24, s22, s20
	s_add_i32 s23, s25, s23
	s_mul_i32 s26, s21, s20
	s_add_i32 s23, s23, s24
	s_mul_hi_u32 s25, s20, s26
	s_mul_i32 s28, s20, s23
	s_mul_hi_u32 s27, s15, s26
	s_mul_i32 s24, s15, s26
	s_mul_hi_u32 s26, s20, s23
	s_add_u32 s25, s25, s28
	s_addc_u32 s26, 0, s26
	s_mul_hi_u32 s29, s15, s23
	s_add_u32 s24, s25, s24
	s_mul_i32 s23, s15, s23
	s_addc_u32 s24, s26, s27
	s_addc_u32 s25, s29, 0
	s_add_u32 s23, s24, s23
	s_addc_u32 s24, 0, s25
	s_add_u32 s20, s20, s23
	s_cselect_b32 s23, -1, 0
	s_mul_hi_u32 s25, s21, s20
	s_cmp_lg_u32 s23, 0
	s_mul_i32 s23, s21, s20
	s_addc_u32 s15, s15, s24
	s_mul_i32 s22, s22, s20
	s_mul_i32 s21, s21, s15
	s_mul_hi_u32 s24, s20, s23
	s_add_i32 s21, s25, s21
	s_mul_hi_u32 s25, s15, s23
	s_add_i32 s21, s21, s22
	s_mul_i32 s22, s15, s23
	s_mul_i32 s27, s20, s21
	s_mul_hi_u32 s26, s20, s21
	s_add_u32 s24, s24, s27
	s_addc_u32 s26, 0, s26
	s_mul_hi_u32 s23, s15, s21
	s_add_u32 s22, s24, s22
	s_mul_i32 s21, s15, s21
	s_addc_u32 s22, s26, s25
	s_addc_u32 s23, s23, 0
	s_add_u32 s21, s22, s21
	s_addc_u32 s22, 0, s23
	s_add_u32 s24, s20, s21
	s_cselect_b32 s20, -1, 0
	s_cmp_lg_u32 s20, 0
	s_addc_u32 s15, s15, s22
	s_ashr_i32 s20, s17, 31
	s_add_u32 s22, s11, s20
	s_mov_b32 s21, s20
	s_addc_u32 s23, s17, s20
	s_xor_b64 s[22:23], s[22:23], s[20:21]
	s_mul_i32 s25, s22, s15
	s_mul_hi_u32 s26, s22, s24
	s_mul_hi_u32 s17, s22, s15
	;; [unrolled: 1-line block ×3, first 2 shown]
	s_mul_i32 s24, s23, s24
	s_add_u32 s25, s26, s25
	s_addc_u32 s17, 0, s17
	s_mul_hi_u32 s27, s23, s15
	s_add_u32 s24, s25, s24
	s_mul_i32 s15, s23, s15
	s_addc_u32 s17, s17, s28
	s_addc_u32 s24, s27, 0
	s_add_u32 s15, s17, s15
	s_addc_u32 s17, 0, s24
	s_mul_hi_u32 s24, s18, s15
	s_mul_i32 s25, s18, s17
	s_mul_i32 s26, s19, s15
	s_add_i32 s24, s24, s25
	s_mul_i32 s25, s18, s15
	s_add_i32 s24, s24, s26
	s_sub_i32 s26, s23, s24
	s_sub_u32 s22, s22, s25
	s_cselect_b32 s25, -1, 0
	s_cmp_lg_u32 s25, 0
	s_subb_u32 s26, s26, s19
	s_sub_u32 s27, s22, s18
	s_cselect_b32 s28, -1, 0
	s_cmp_lg_u32 s28, 0
	s_subb_u32 s26, s26, 0
	s_cmp_ge_u32 s26, s19
	s_cselect_b32 s28, -1, 0
	s_cmp_ge_u32 s27, s18
	s_cselect_b32 s27, -1, 0
	s_cmp_eq_u32 s26, s19
	s_cselect_b32 s26, s27, s28
	s_add_u32 s27, s15, 1
	s_addc_u32 s28, s17, 0
	s_add_u32 s29, s15, 2
	s_addc_u32 s30, s17, 0
	s_cmp_lg_u32 s26, 0
	s_cselect_b32 s26, s29, s27
	s_cselect_b32 s27, s30, s28
	s_cmp_lg_u32 s25, 0
	s_subb_u32 s23, s23, s24
	s_cmp_ge_u32 s23, s19
	s_cselect_b32 s24, -1, 0
	s_cmp_ge_u32 s22, s18
	s_cselect_b32 s18, -1, 0
	s_cmp_eq_u32 s23, s19
	s_cselect_b32 s18, s18, s24
	s_cmp_lg_u32 s18, 0
	s_cselect_b32 s19, s27, s17
	s_cselect_b32 s18, s26, s15
	s_xor_b64 s[20:21], s[20:21], 0
	s_xor_b64 s[18:19], s[18:19], s[20:21]
	s_sub_u32 s18, s18, s20
	s_andn2_b32 vcc_lo, exec_lo, s16
	s_cbranch_vccnz .LBB21_6
.LBB21_5:
	v_cvt_f32_u32_e32 v1, s9
	s_sub_i32 s16, 0, s9
	v_rcp_iflag_f32_e32 v1, v1
	v_mul_f32_e32 v1, 0x4f7ffffe, v1
	v_cvt_u32_f32_e32 v1, v1
	s_waitcnt lgkmcnt(0)
	v_readfirstlane_b32 s15, v1
	s_mul_i32 s16, s16, s15
	s_mul_hi_u32 s16, s15, s16
	s_add_i32 s15, s15, s16
	s_mul_hi_u32 s15, s11, s15
	s_mul_i32 s16, s15, s9
	s_sub_i32 s11, s11, s16
	s_add_i32 s16, s15, 1
	s_sub_i32 s17, s11, s9
	s_cmp_ge_u32 s11, s9
	s_cselect_b32 s15, s16, s15
	s_cselect_b32 s11, s17, s11
	s_add_i32 s16, s15, 1
	s_cmp_ge_u32 s11, s9
	s_cselect_b32 s18, s16, s15
.LBB21_6:
	s_cmp_eq_u32 s10, s18
	s_waitcnt lgkmcnt(0)
	s_mul_hi_u32 s11, s10, s12
	s_cselect_b32 s15, -1, 0
	s_add_i32 s11, s11, s10
	s_lshr_b32 s11, s11, s13
	s_mul_i32 s16, s11, s14
	s_cmp_eq_u32 s16, s10
	s_mul_hi_u32 s16, s18, s12
	s_cselect_b32 s17, -1, 0
	s_add_i32 s16, s16, s18
	s_lshr_b32 s16, s16, s13
	s_cmp_eq_u32 s11, s16
	s_mul_i32 s16, s16, s14
	s_cselect_b32 s19, -1, 0
	s_cmp_lg_u32 s16, s18
	s_cselect_b32 s16, -1, 0
	s_or_b32 s15, s15, s17
	s_and_b32 s16, s19, s16
	s_or_b32 s15, s15, s16
	s_and_b32 vcc_lo, exec_lo, s15
	s_cbranch_vccnz .LBB21_24
; %bb.7:
	s_load_dwordx8 s[20:27], s[4:5], 0x20
	s_waitcnt lgkmcnt(0)
	s_mul_hi_u32 s15, s10, s20
	s_add_i32 s15, s15, s10
	s_lshr_b32 s20, s15, s21
	s_load_dword s15, s[4:5], 0x40
	s_mul_i32 s16, s20, s22
	s_sub_i32 s16, s10, s16
	s_mul_hi_u32 s17, s16, s23
	s_add_i32 s17, s16, s17
	s_lshr_b32 s22, s17, s24
	s_mul_i32 s17, s22, s25
	s_sub_i32 s16, s16, s17
	s_mul_hi_u32 s17, s16, s26
	s_add_i32 s17, s16, s17
	s_lshr_b32 s23, s17, s27
	s_waitcnt lgkmcnt(0)
	s_mul_i32 s15, s23, s15
	s_sub_i32 s15, s16, s15
	s_mul_hi_u32 s16, s15, s12
	s_add_i32 s15, s15, s16
	s_lshr_b32 s24, s15, s13
	s_lshl_b32 s15, s24, 1
	s_add_i32 s15, s15, s7
	s_cmp_lt_i32 s15, s0
	s_cselect_b32 s15, -1, 0
	s_add_i32 s16, s23, s8
	s_cmp_lt_i32 s16, s2
	s_cselect_b32 s16, -1, 0
	s_and_b32 s15, s15, s16
	s_andn2_b32 vcc_lo, exec_lo, s15
	s_cbranch_vccnz .LBB21_24
; %bb.8:
	s_load_dwordx4 s[16:19], s[4:5], 0x0
	s_mov_b32 s4, 0
	s_lshl_b32 s26, s9, 3
	s_mov_b32 s27, s4
	s_add_i32 s15, s7, s8
	s_lshl_b64 s[26:27], s[26:27], 2
	s_mul_i32 s0, s20, s0
	s_mul_i32 s22, s22, s2
	v_cvt_f32_u32_e32 v4, s9
	v_rcp_iflag_f32_e32 v4, v4
	s_waitcnt lgkmcnt(0)
	s_add_u32 s20, s18, s26
	s_addc_u32 s21, s19, s27
	s_add_i32 s0, s0, s7
	v_mul_f32_e32 v4, 0x4f7ffffe, v4
	s_mul_i32 s0, s0, s1
	s_mul_i32 s1, s1, s24
	s_add_i32 s0, s0, s8
	s_lshl_b32 s1, s1, 8
	s_add_i32 s0, s0, s22
	v_cvt_u32_f32_e32 v4, v4
	s_add_i32 s0, s0, s23
	s_lshl_b32 s0, s0, 7
	s_add_i32 s1, s1, s0
	s_lshl_b32 s0, s6, 1
	v_or_b32_e32 v1, s1, v0
	s_add_i32 s0, s0, s15
	v_lshl_or_b32 v0, s15, 7, v0
	s_ashr_i32 s1, s0, 31
	v_ashrrev_i32_e32 v2, 31, v1
	s_lshl_b64 s[0:1], s[0:1], 3
	s_add_u32 s0, s18, s0
	s_addc_u32 s1, s19, s1
	v_lshlrev_b64 v[1:2], 2, v[1:2]
	s_load_dwordx2 s[0:1], s[0:1], 0x0
	s_add_i32 s8, s6, -1
	s_sub_i32 s2, 0, s9
	v_add_co_u32 v1, vcc_lo, s16, v1
	v_add_co_ci_u32_e64 v2, null, s17, v2, vcc_lo
	global_load_dword v3, v[1:2], off
	s_waitcnt lgkmcnt(0)
	v_mov_b32_e32 v5, s1
	v_mov_b32_e32 v6, s0
.LBB21_9:                               ; =>This Inner Loop Header: Depth=1
	s_mul_hi_i32 s5, s8, s3
	s_mul_i32 s6, s8, s3
	s_cmp_lg_u64 s[4:5], 0
	s_mov_b32 s7, -1
                                        ; implicit-def: $sgpr0_sgpr1
	s_cbranch_scc0 .LBB21_11
; %bb.10:                               ;   in Loop: Header=BB21_9 Depth=1
	s_add_u32 s0, s9, 0
	s_addc_u32 s1, 0, 0
	s_xor_b64 s[0:1], s[0:1], 0
	v_cvt_f32_u32_e32 v7, s0
	v_cvt_f32_u32_e32 v8, s1
	s_sub_u32 s17, 0, s0
	s_subb_u32 s22, 0, s1
	v_fmac_f32_e32 v7, 0x4f800000, v8
	v_rcp_f32_e32 v7, v7
	v_mul_f32_e32 v7, 0x5f7ffffc, v7
	v_mul_f32_e32 v8, 0x2f800000, v7
	v_trunc_f32_e32 v8, v8
	v_fmac_f32_e32 v7, 0xcf800000, v8
	v_cvt_u32_f32_e32 v8, v8
	v_cvt_u32_f32_e32 v7, v7
	v_readfirstlane_b32 s7, v8
	v_readfirstlane_b32 s16, v7
	s_mul_i32 s23, s17, s7
	s_mul_hi_u32 s25, s17, s16
	s_mul_i32 s24, s22, s16
	s_add_i32 s23, s25, s23
	s_mul_i32 s26, s17, s16
	s_add_i32 s23, s23, s24
	s_mul_hi_u32 s25, s16, s26
	s_mul_i32 s28, s16, s23
	s_mul_hi_u32 s27, s7, s26
	s_mul_i32 s24, s7, s26
	s_mul_hi_u32 s26, s16, s23
	s_add_u32 s25, s25, s28
	s_addc_u32 s26, 0, s26
	s_mul_hi_u32 s29, s7, s23
	s_add_u32 s24, s25, s24
	s_mul_i32 s23, s7, s23
	s_addc_u32 s24, s26, s27
	s_addc_u32 s25, s29, 0
	s_add_u32 s23, s24, s23
	s_addc_u32 s24, 0, s25
	s_add_u32 s16, s16, s23
	s_cselect_b32 s23, -1, 0
	s_mul_hi_u32 s25, s17, s16
	s_cmp_lg_u32 s23, 0
	s_mul_i32 s23, s17, s16
	s_addc_u32 s7, s7, s24
	s_mul_i32 s22, s22, s16
	s_mul_i32 s17, s17, s7
	s_mul_hi_u32 s24, s16, s23
	s_add_i32 s17, s25, s17
	s_mul_hi_u32 s25, s7, s23
	s_add_i32 s17, s17, s22
	s_mul_i32 s22, s7, s23
	s_mul_i32 s27, s16, s17
	s_mul_hi_u32 s26, s16, s17
	s_add_u32 s24, s24, s27
	s_addc_u32 s26, 0, s26
	s_mul_hi_u32 s23, s7, s17
	s_add_u32 s22, s24, s22
	s_mul_i32 s17, s7, s17
	s_addc_u32 s22, s26, s25
	s_addc_u32 s23, s23, 0
	s_add_u32 s17, s22, s17
	s_addc_u32 s22, 0, s23
	s_add_u32 s24, s16, s17
	s_cselect_b32 s16, -1, 0
	s_cmp_lg_u32 s16, 0
	s_addc_u32 s7, s7, s22
	s_ashr_i32 s16, s5, 31
	s_add_u32 s22, s6, s16
	s_mov_b32 s17, s16
	s_addc_u32 s23, s5, s16
	s_xor_b64 s[22:23], s[22:23], s[16:17]
	s_mul_i32 s25, s22, s7
	s_mul_hi_u32 s26, s22, s24
	s_mul_hi_u32 s5, s22, s7
	;; [unrolled: 1-line block ×3, first 2 shown]
	s_mul_i32 s24, s23, s24
	s_add_u32 s25, s26, s25
	s_addc_u32 s5, 0, s5
	s_mul_hi_u32 s27, s23, s7
	s_add_u32 s24, s25, s24
	s_mul_i32 s7, s23, s7
	s_addc_u32 s5, s5, s28
	s_addc_u32 s24, s27, 0
	s_add_u32 s5, s5, s7
	s_addc_u32 s7, 0, s24
	s_mul_hi_u32 s24, s0, s5
	s_mul_i32 s25, s0, s7
	s_mul_i32 s26, s1, s5
	s_add_i32 s24, s24, s25
	s_mul_i32 s25, s0, s5
	s_add_i32 s24, s24, s26
	s_sub_i32 s26, s23, s24
	s_sub_u32 s22, s22, s25
	s_cselect_b32 s25, -1, 0
	s_cmp_lg_u32 s25, 0
	s_subb_u32 s26, s26, s1
	s_sub_u32 s27, s22, s0
	s_cselect_b32 s28, -1, 0
	s_cmp_lg_u32 s28, 0
	s_subb_u32 s26, s26, 0
	s_cmp_ge_u32 s26, s1
	s_cselect_b32 s28, -1, 0
	s_cmp_ge_u32 s27, s0
	s_cselect_b32 s27, -1, 0
	s_cmp_eq_u32 s26, s1
	s_cselect_b32 s26, s27, s28
	s_add_u32 s27, s5, 1
	s_addc_u32 s28, s7, 0
	s_add_u32 s29, s5, 2
	s_addc_u32 s30, s7, 0
	s_cmp_lg_u32 s26, 0
	s_cselect_b32 s26, s29, s27
	s_cselect_b32 s27, s30, s28
	s_cmp_lg_u32 s25, 0
	s_subb_u32 s23, s23, s24
	s_cmp_ge_u32 s23, s1
	s_cselect_b32 s24, -1, 0
	s_cmp_ge_u32 s22, s0
	s_cselect_b32 s0, -1, 0
	s_cmp_eq_u32 s23, s1
	s_cselect_b32 s0, s0, s24
	s_cmp_lg_u32 s0, 0
	s_cselect_b32 s1, s27, s7
	s_cselect_b32 s0, s26, s5
	s_xor_b64 s[16:17], s[16:17], 0
	s_mov_b32 s7, 0
	s_xor_b64 s[0:1], s[0:1], s[16:17]
	s_sub_u32 s0, s0, s16
.LBB21_11:                              ;   in Loop: Header=BB21_9 Depth=1
	s_andn2_b32 vcc_lo, exec_lo, s7
	s_cbranch_vccnz .LBB21_13
; %bb.12:                               ;   in Loop: Header=BB21_9 Depth=1
	v_readfirstlane_b32 s0, v4
	s_mul_i32 s1, s2, s0
	s_mul_hi_u32 s1, s0, s1
	s_add_i32 s0, s0, s1
	s_mul_hi_u32 s0, s6, s0
	s_mul_i32 s1, s0, s9
	s_add_i32 s5, s0, 1
	s_sub_i32 s1, s6, s1
	s_sub_i32 s6, s1, s9
	s_cmp_ge_u32 s1, s9
	s_cselect_b32 s0, s5, s0
	s_cselect_b32 s1, s6, s1
	s_add_i32 s5, s0, 1
	s_cmp_ge_u32 s1, s9
	s_cselect_b32 s0, s5, s0
.LBB21_13:                              ;   in Loop: Header=BB21_9 Depth=1
	s_cmp_lg_u32 s10, s0
	s_mov_b32 s6, -1
                                        ; implicit-def: $sgpr5
                                        ; implicit-def: $vgpr8
                                        ; implicit-def: $vgpr7
                                        ; implicit-def: $vgpr9
                                        ; implicit-def: $sgpr1
                                        ; implicit-def: $sgpr16
	s_cbranch_scc0 .LBB21_18
; %bb.14:                               ;   in Loop: Header=BB21_9 Depth=1
	s_add_i32 s1, s8, s9
	s_mov_b32 s7, s4
	s_lshl_b32 s1, s1, 1
	s_mov_b32 s16, s10
	s_add_i32 s6, s1, s15
	s_mul_hi_u32 s1, s0, s12
	s_lshl_b64 s[6:7], s[6:7], 3
	s_add_u32 s6, s18, s6
	s_addc_u32 s7, s19, s7
	s_add_i32 s1, s1, s0
	s_lshr_b32 s1, s1, s13
	s_mul_i32 s5, s1, s14
	s_cmp_eq_u32 s5, s0
	s_cselect_b32 s5, -1, 0
	s_cmp_lt_u32 s1, s11
	s_cselect_b32 s1, -1, 0
	s_or_b32 s1, s1, s5
	s_mov_b32 s5, -1
	s_and_b32 vcc_lo, exec_lo, s1
	s_mov_b32 s1, s8
	s_cbranch_vccnz .LBB21_16
; %bb.15:                               ;   in Loop: Header=BB21_9 Depth=1
	s_add_i32 s1, s8, -1
	s_mov_b32 s5, 0
	s_mov_b32 s16, s0
.LBB21_16:                              ;   in Loop: Header=BB21_9 Depth=1
	v_lshl_add_u32 v7, s8, 8, v0
	s_load_dwordx2 s[6:7], s[6:7], 0x0
	v_ashrrev_i32_e32 v8, 31, v7
	v_lshlrev_b64 v[7:8], 2, v[7:8]
	v_add_co_u32 v7, vcc_lo, s20, v7
	v_add_co_ci_u32_e64 v8, null, s21, v8, vcc_lo
	s_waitcnt lgkmcnt(0)
	v_max_f32_e64 v9, s6, s6
	global_load_dword v8, v[7:8], off
	v_max_f32_e32 v7, v6, v6
	v_max_f32_e32 v7, v7, v9
	v_sub_f32_e32 v9, s6, v7
	v_sub_f32_e32 v10, v6, v7
	v_mul_f32_e32 v11, 0x3fb8aa3b, v9
	v_mul_f32_e32 v12, 0x3fb8aa3b, v10
	v_cmp_ngt_f32_e32 vcc_lo, 0xc2ce8ed0, v9
	v_fma_f32 v13, 0x3fb8aa3b, v9, -v11
	v_rndne_f32_e32 v14, v11
	v_fma_f32 v15, 0x3fb8aa3b, v10, -v12
	v_rndne_f32_e32 v16, v12
	v_fmac_f32_e32 v13, 0x32a5705f, v9
	v_sub_f32_e32 v11, v11, v14
	v_fmac_f32_e32 v15, 0x32a5705f, v10
	v_sub_f32_e32 v12, v12, v16
	v_add_f32_e32 v11, v11, v13
	v_cvt_i32_f32_e32 v13, v14
	v_add_f32_e32 v12, v12, v15
	v_cvt_i32_f32_e32 v14, v16
	v_exp_f32_e32 v11, v11
	v_exp_f32_e32 v12, v12
	v_ldexp_f32 v11, v11, v13
	v_ldexp_f32 v12, v12, v14
	v_cndmask_b32_e32 v11, 0, v11, vcc_lo
	v_cmp_ngt_f32_e32 vcc_lo, 0xc2ce8ed0, v10
	v_cndmask_b32_e32 v12, 0, v12, vcc_lo
	v_cmp_nlt_f32_e32 vcc_lo, 0x42b17218, v9
	v_cndmask_b32_e32 v11, 0x7f800000, v11, vcc_lo
	v_cmp_nlt_f32_e32 vcc_lo, 0x42b17218, v10
	v_cndmask_b32_e32 v12, 0x7f800000, v12, vcc_lo
	v_cmp_le_f32_e32 vcc_lo, 0xc1a00000, v9
	v_cndmask_b32_e32 v9, 0, v11, vcc_lo
	v_cmp_le_f32_e32 vcc_lo, 0xc1a00000, v10
	v_cndmask_b32_e32 v10, 0, v12, vcc_lo
	s_waitcnt vmcnt(0)
	v_mul_f32_e32 v8, v8, v9
	v_mul_f32_e32 v9, s7, v9
	v_fmac_f32_e32 v8, v3, v10
	v_fmac_f32_e32 v9, v5, v10
	s_cbranch_execz .LBB21_19
.LBB21_17:                              ;   in Loop: Header=BB21_9 Depth=1
	s_andn2_b32 vcc_lo, exec_lo, s5
	s_cbranch_vccnz .LBB21_20
	s_branch .LBB21_23
.LBB21_18:                              ;   in Loop: Header=BB21_9 Depth=1
	s_andn2_b32 vcc_lo, exec_lo, s6
	s_cbranch_vccnz .LBB21_17
.LBB21_19:                              ;   in Loop: Header=BB21_9 Depth=1
	v_mov_b32_e32 v9, v5
	v_mov_b32_e32 v7, v6
	s_waitcnt vmcnt(0)
	v_mov_b32_e32 v8, v3
	s_add_i32 s1, s8, -1
	s_mov_b32 s16, s10
	s_cbranch_execz .LBB21_23
.LBB21_20:                              ;   in Loop: Header=BB21_9 Depth=1
	v_mov_b32_e32 v5, v9
	v_mov_b32_e32 v6, v7
	s_waitcnt vmcnt(0)
	v_mov_b32_e32 v3, v8
	s_mov_b32 s10, s16
	s_mov_b32 s8, s1
	s_branch .LBB21_9
.LBB21_21:
                                        ; implicit-def: $sgpr10_sgpr11
	s_load_dwordx4 s[12:15], s[4:5], 0x44
	s_branch .LBB21_2
.LBB21_22:
                                        ; implicit-def: $sgpr18_sgpr19
	s_branch .LBB21_5
.LBB21_23:
	v_div_scale_f32 v0, null, v9, v9, v8
	s_waitcnt vmcnt(0)
	v_rcp_f32_e32 v3, v0
	v_fma_f32 v4, -v0, v3, 1.0
	v_fmac_f32_e32 v3, v4, v3
	v_div_scale_f32 v4, vcc_lo, v8, v9, v8
	v_mul_f32_e32 v5, v4, v3
	v_fma_f32 v6, -v0, v5, v4
	v_fmac_f32_e32 v5, v6, v3
	v_fma_f32 v0, -v0, v5, v4
	v_div_fmas_f32 v0, v0, v3, v5
	v_div_fixup_f32 v0, v0, v9, v8
	global_store_dword v[1:2], v0, off
.LBB21_24:
	s_endpgm
	.section	.rodata,"a",@progbits
	.p2align	6, 0x0
	.amdhsa_kernel _ZL33flash_attn_stream_k_fixup_generalILi128ELi2ELi1EEvPfPK15HIP_vector_typeIfLj2EEiiiiS1_IjLj3EES5_S5_S5_
		.amdhsa_group_segment_fixed_size 0
		.amdhsa_private_segment_fixed_size 0
		.amdhsa_kernarg_size 336
		.amdhsa_user_sgpr_count 6
		.amdhsa_user_sgpr_private_segment_buffer 1
		.amdhsa_user_sgpr_dispatch_ptr 0
		.amdhsa_user_sgpr_queue_ptr 0
		.amdhsa_user_sgpr_kernarg_segment_ptr 1
		.amdhsa_user_sgpr_dispatch_id 0
		.amdhsa_user_sgpr_flat_scratch_init 0
		.amdhsa_user_sgpr_private_segment_size 0
		.amdhsa_wavefront_size32 1
		.amdhsa_uses_dynamic_stack 0
		.amdhsa_system_sgpr_private_segment_wavefront_offset 0
		.amdhsa_system_sgpr_workgroup_id_x 1
		.amdhsa_system_sgpr_workgroup_id_y 1
		.amdhsa_system_sgpr_workgroup_id_z 1
		.amdhsa_system_sgpr_workgroup_info 0
		.amdhsa_system_vgpr_workitem_id 0
		.amdhsa_next_free_vgpr 17
		.amdhsa_next_free_sgpr 31
		.amdhsa_reserve_vcc 1
		.amdhsa_reserve_flat_scratch 0
		.amdhsa_float_round_mode_32 0
		.amdhsa_float_round_mode_16_64 0
		.amdhsa_float_denorm_mode_32 3
		.amdhsa_float_denorm_mode_16_64 3
		.amdhsa_dx10_clamp 1
		.amdhsa_ieee_mode 1
		.amdhsa_fp16_overflow 0
		.amdhsa_workgroup_processor_mode 1
		.amdhsa_memory_ordered 1
		.amdhsa_forward_progress 1
		.amdhsa_shared_vgpr_count 0
		.amdhsa_exception_fp_ieee_invalid_op 0
		.amdhsa_exception_fp_denorm_src 0
		.amdhsa_exception_fp_ieee_div_zero 0
		.amdhsa_exception_fp_ieee_overflow 0
		.amdhsa_exception_fp_ieee_underflow 0
		.amdhsa_exception_fp_ieee_inexact 0
		.amdhsa_exception_int_div_zero 0
	.end_amdhsa_kernel
	.section	.text._ZL33flash_attn_stream_k_fixup_generalILi128ELi2ELi1EEvPfPK15HIP_vector_typeIfLj2EEiiiiS1_IjLj3EES5_S5_S5_,"axG",@progbits,_ZL33flash_attn_stream_k_fixup_generalILi128ELi2ELi1EEvPfPK15HIP_vector_typeIfLj2EEiiiiS1_IjLj3EES5_S5_S5_,comdat
.Lfunc_end21:
	.size	_ZL33flash_attn_stream_k_fixup_generalILi128ELi2ELi1EEvPfPK15HIP_vector_typeIfLj2EEiiiiS1_IjLj3EES5_S5_S5_, .Lfunc_end21-_ZL33flash_attn_stream_k_fixup_generalILi128ELi2ELi1EEvPfPK15HIP_vector_typeIfLj2EEiiiiS1_IjLj3EES5_S5_S5_
                                        ; -- End function
	.set _ZL33flash_attn_stream_k_fixup_generalILi128ELi2ELi1EEvPfPK15HIP_vector_typeIfLj2EEiiiiS1_IjLj3EES5_S5_S5_.num_vgpr, 17
	.set _ZL33flash_attn_stream_k_fixup_generalILi128ELi2ELi1EEvPfPK15HIP_vector_typeIfLj2EEiiiiS1_IjLj3EES5_S5_S5_.num_agpr, 0
	.set _ZL33flash_attn_stream_k_fixup_generalILi128ELi2ELi1EEvPfPK15HIP_vector_typeIfLj2EEiiiiS1_IjLj3EES5_S5_S5_.numbered_sgpr, 31
	.set _ZL33flash_attn_stream_k_fixup_generalILi128ELi2ELi1EEvPfPK15HIP_vector_typeIfLj2EEiiiiS1_IjLj3EES5_S5_S5_.num_named_barrier, 0
	.set _ZL33flash_attn_stream_k_fixup_generalILi128ELi2ELi1EEvPfPK15HIP_vector_typeIfLj2EEiiiiS1_IjLj3EES5_S5_S5_.private_seg_size, 0
	.set _ZL33flash_attn_stream_k_fixup_generalILi128ELi2ELi1EEvPfPK15HIP_vector_typeIfLj2EEiiiiS1_IjLj3EES5_S5_S5_.uses_vcc, 1
	.set _ZL33flash_attn_stream_k_fixup_generalILi128ELi2ELi1EEvPfPK15HIP_vector_typeIfLj2EEiiiiS1_IjLj3EES5_S5_S5_.uses_flat_scratch, 0
	.set _ZL33flash_attn_stream_k_fixup_generalILi128ELi2ELi1EEvPfPK15HIP_vector_typeIfLj2EEiiiiS1_IjLj3EES5_S5_S5_.has_dyn_sized_stack, 0
	.set _ZL33flash_attn_stream_k_fixup_generalILi128ELi2ELi1EEvPfPK15HIP_vector_typeIfLj2EEiiiiS1_IjLj3EES5_S5_S5_.has_recursion, 0
	.set _ZL33flash_attn_stream_k_fixup_generalILi128ELi2ELi1EEvPfPK15HIP_vector_typeIfLj2EEiiiiS1_IjLj3EES5_S5_S5_.has_indirect_call, 0
	.section	.AMDGPU.csdata,"",@progbits
; Kernel info:
; codeLenInByte = 2936
; TotalNumSgprs: 33
; NumVgprs: 17
; ScratchSize: 0
; MemoryBound: 0
; FloatMode: 240
; IeeeMode: 1
; LDSByteSize: 0 bytes/workgroup (compile time only)
; SGPRBlocks: 0
; VGPRBlocks: 2
; NumSGPRsForWavesPerEU: 33
; NumVGPRsForWavesPerEU: 17
; Occupancy: 16
; WaveLimiterHint : 0
; COMPUTE_PGM_RSRC2:SCRATCH_EN: 0
; COMPUTE_PGM_RSRC2:USER_SGPR: 6
; COMPUTE_PGM_RSRC2:TRAP_HANDLER: 0
; COMPUTE_PGM_RSRC2:TGID_X_EN: 1
; COMPUTE_PGM_RSRC2:TGID_Y_EN: 1
; COMPUTE_PGM_RSRC2:TGID_Z_EN: 1
; COMPUTE_PGM_RSRC2:TIDIG_COMP_CNT: 0
	.section	.text._ZL18flash_attn_ext_vecILi128ELi2EL9ggml_type7ELS0_8ELb1EEvPKcS2_S2_S2_S2_PKiPfP15HIP_vector_typeIfLj2EEffffjfiS6_IjLj3EEiiiiiiiiiiiliiliiiiil,"axG",@progbits,_ZL18flash_attn_ext_vecILi128ELi2EL9ggml_type7ELS0_8ELb1EEvPKcS2_S2_S2_S2_PKiPfP15HIP_vector_typeIfLj2EEffffjfiS6_IjLj3EEiiiiiiiiiiiliiliiiiil,comdat
	.globl	_ZL18flash_attn_ext_vecILi128ELi2EL9ggml_type7ELS0_8ELb1EEvPKcS2_S2_S2_S2_PKiPfP15HIP_vector_typeIfLj2EEffffjfiS6_IjLj3EEiiiiiiiiiiiliiliiiiil ; -- Begin function _ZL18flash_attn_ext_vecILi128ELi2EL9ggml_type7ELS0_8ELb1EEvPKcS2_S2_S2_S2_PKiPfP15HIP_vector_typeIfLj2EEffffjfiS6_IjLj3EEiiiiiiiiiiiliiliiiiil
	.p2align	8
	.type	_ZL18flash_attn_ext_vecILi128ELi2EL9ggml_type7ELS0_8ELb1EEvPKcS2_S2_S2_S2_PKiPfP15HIP_vector_typeIfLj2EEffffjfiS6_IjLj3EEiiiiiiiiiiiliiliiiiil,@function
_ZL18flash_attn_ext_vecILi128ELi2EL9ggml_type7ELS0_8ELb1EEvPKcS2_S2_S2_S2_PKiPfP15HIP_vector_typeIfLj2EEffffjfiS6_IjLj3EEiiiiiiiiiiiliiliiiiil: ; @_ZL18flash_attn_ext_vecILi128ELi2EL9ggml_type7ELS0_8ELb1EEvPKcS2_S2_S2_S2_PKiPfP15HIP_vector_typeIfLj2EEffffjfiS6_IjLj3EEiiiiiiiiiiiliiliiiiil
; %bb.0:
	s_clause 0x2
	s_load_dwordx2 s[36:37], s[6:7], 0x64
	s_load_dwordx2 s[42:43], s[6:7], 0x80
	;; [unrolled: 1-line block ×3, first 2 shown]
	s_mov_b32 s34, s9
	s_clause 0x1
	s_load_dwordx4 s[28:31], s[6:7], 0x40
	s_load_dwordx2 s[40:41], s[6:7], 0x50
	v_mov_b32_e32 v77, 1.0
	s_waitcnt lgkmcnt(0)
	v_cvt_f32_u32_e32 v3, s37
	s_sub_i32 s1, 0, s37
	v_rcp_iflag_f32_e32 v3, v3
	v_mul_f32_e32 v3, 0x4f7ffffe, v3
	v_cvt_u32_f32_e32 v3, v3
	v_readfirstlane_b32 s0, v3
	s_mul_i32 s1, s1, s0
	s_mul_hi_u32 s1, s0, s1
	s_add_i32 s0, s0, s1
	s_mul_hi_u32 s0, s10, s0
	s_mul_i32 s1, s0, s37
	s_add_i32 s2, s0, 1
	s_sub_i32 s1, s10, s1
	s_sub_i32 s3, s1, s37
	s_cmp_ge_u32 s1, s37
	s_cselect_b32 s0, s2, s0
	s_cselect_b32 s1, s3, s1
	s_add_i32 s2, s0, 1
	s_cmp_ge_u32 s1, s37
	s_cselect_b32 s33, s2, s0
	s_abs_i32 s0, s43
	s_abs_i32 s9, s37
	v_cvt_f32_u32_e32 v3, s0
	s_sub_i32 s2, 0, s0
	s_xor_b32 s3, s37, s43
	s_ashr_i32 s3, s3, 31
	v_rcp_iflag_f32_e32 v3, v3
	v_mul_f32_e32 v3, 0x4f7ffffe, v3
	v_cvt_u32_f32_e32 v3, v3
	v_readfirstlane_b32 s1, v3
	s_mul_i32 s2, s2, s1
	s_mul_hi_u32 s2, s1, s2
	s_add_i32 s1, s1, s2
	s_mul_i32 s2, s33, s37
	s_mul_hi_u32 s1, s9, s1
	s_sub_i32 s38, s10, s2
	s_mul_i32 s11, s1, s0
	s_sub_i32 s2, s9, s11
	s_add_i32 s9, s1, 1
	s_sub_i32 s10, s2, s0
	s_cmp_ge_u32 s2, s0
	s_cselect_b32 s1, s9, s1
	s_cselect_b32 s2, s10, s2
	s_add_i32 s9, s1, 1
	s_cmp_ge_u32 s2, s0
	s_cselect_b32 s0, s9, s1
	s_abs_i32 s35, s44
	s_xor_b32 s0, s0, s3
	v_cvt_f32_u32_e32 v3, s35
	s_sub_i32 s43, s0, s3
	v_cmp_le_f32_e64 s0, s29, 0
	s_abs_i32 s39, s43
	v_cvt_f32_u32_e32 v4, s39
	v_rcp_iflag_f32_e32 v3, v3
	s_and_b32 vcc_lo, exec_lo, s0
	v_rcp_iflag_f32_e32 v4, v4
	v_mul_f32_e32 v3, 0x4f7ffffe, v3
	v_mul_f32_e32 v4, 0x4f7ffffe, v4
	v_cvt_u32_f32_e32 v3, v3
	v_cvt_u32_f32_e32 v4, v4
	v_readfirstlane_b32 s29, v3
	v_readfirstlane_b32 s44, v4
	s_cbranch_vccnz .LBB22_2
; %bb.1:
	v_sub_co_u32 v4, vcc_lo, s38, s40
	v_mov_b32_e32 v3, s30
	s_add_i32 s0, s38, 1
	v_lshlrev_b32_e32 v4, 1, v4
	v_cndmask_b32_e32 v3, s31, v3, vcc_lo
	v_or_b32_e32 v4, 1, v4
	v_cndmask_b32_e64 v4, v4, s0, vcc_lo
	v_cmp_neq_f32_e32 vcc_lo, 1.0, v3
	s_mov_b32 s0, 0x3e76c4e1
	v_cvt_f32_i32_e32 v4, v4
	v_cndmask_b32_e32 v5, 1.0, v4, vcc_lo
	v_cmp_neq_f32_e32 vcc_lo, 0, v5
	v_cndmask_b32_e32 v6, 1.0, v3, vcc_lo
	v_frexp_mant_f32_e64 v3, |v6|
	v_cmp_eq_f32_e64 s2, 0, v6
	v_cmp_gt_f32_e32 vcc_lo, 0x3f2aaaab, v3
	v_cndmask_b32_e64 v4, 1.0, 2.0, vcc_lo
	v_mul_f32_e32 v3, v3, v4
	v_add_f32_e32 v4, 1.0, v3
	v_add_f32_e32 v8, -1.0, v3
	v_rcp_f32_e32 v7, v4
	v_add_f32_e32 v10, -1.0, v4
	v_sub_f32_e32 v3, v3, v10
	v_mul_f32_e32 v9, v8, v7
	v_mul_f32_e32 v11, v4, v9
	v_fma_f32 v4, v9, v4, -v11
	v_fmac_f32_e32 v4, v9, v3
	v_add_f32_e32 v3, v11, v4
	v_sub_f32_e32 v10, v8, v3
	v_sub_f32_e32 v11, v3, v11
	v_sub_f32_e32 v8, v8, v10
	v_sub_f32_e32 v4, v11, v4
	v_sub_f32_e32 v3, v8, v3
	v_add_f32_e32 v3, v4, v3
	v_add_f32_e32 v3, v10, v3
	v_mul_f32_e32 v3, v7, v3
	v_add_f32_e32 v7, v9, v3
	v_sub_f32_e32 v4, v7, v9
	v_mul_f32_e32 v8, v7, v7
	v_sub_f32_e32 v9, v3, v4
	v_fma_f32 v3, v7, v7, -v8
	v_add_f32_e32 v4, v9, v9
	v_fmac_f32_e32 v3, v7, v4
	v_add_f32_e32 v10, v8, v3
	v_fmaak_f32 v4, s0, v10, 0x3e91f4c4
	v_sub_f32_e32 v8, v10, v8
	v_mul_f32_e32 v15, v7, v10
	v_fmaak_f32 v4, v10, v4, 0x3ecccdef
	v_sub_f32_e32 v8, v3, v8
	v_fma_f32 v16, v10, v7, -v15
	v_mul_f32_e32 v11, v10, v4
	v_fmac_f32_e32 v16, v10, v9
	v_ldexp_f32 v9, v9, 1
	v_fma_f32 v12, v10, v4, -v11
	v_fmac_f32_e32 v16, v8, v7
	v_fmac_f32_e32 v12, v8, v4
	v_cvt_f64_f32_e64 v[3:4], |v6|
	v_add_f32_e32 v13, v11, v12
	v_sub_f32_e32 v11, v13, v11
	v_add_f32_e32 v14, 0x3f2aaaaa, v13
	v_sub_f32_e32 v11, v12, v11
	v_add_f32_e32 v12, 0xbf2aaaaa, v14
	v_add_f32_e32 v11, 0x31739010, v11
	v_sub_f32_e32 v12, v13, v12
	v_frexp_exp_i32_f64_e32 v3, v[3:4]
	v_add_f32_e32 v10, v11, v12
	v_add_f32_e32 v11, v15, v16
	;; [unrolled: 1-line block ×3, first 2 shown]
	v_sub_f32_e32 v13, v11, v15
	v_sub_f32_e32 v4, v14, v8
	v_mul_f32_e32 v12, v11, v8
	v_sub_f32_e32 v13, v16, v13
	v_add_f32_e32 v4, v10, v4
	v_fma_f32 v10, v11, v8, -v12
	v_subrev_co_ci_u32_e64 v3, null, 0, v3, vcc_lo
	v_fmac_f32_e32 v10, v11, v4
	v_ldexp_f32 v4, v7, 1
	v_cvt_f32_i32_e32 v3, v3
	v_fmac_f32_e32 v10, v13, v8
	v_add_f32_e32 v7, v12, v10
	v_add_f32_e32 v8, v4, v7
	v_sub_f32_e32 v11, v7, v12
	v_mul_f32_e32 v12, 0x3f317218, v3
	v_sub_f32_e32 v4, v8, v4
	v_sub_f32_e32 v10, v10, v11
	v_fma_f32 v11, 0x3f317218, v3, -v12
	v_sub_f32_e32 v4, v7, v4
	v_add_f32_e32 v7, v9, v10
	v_fmamk_f32 v3, v3, 0xb102e308, v11
	v_add_f32_e32 v4, v7, v4
	v_add_f32_e32 v7, v12, v3
	;; [unrolled: 1-line block ×3, first 2 shown]
	v_sub_f32_e32 v12, v7, v12
	v_add_f32_e32 v10, v7, v9
	v_sub_f32_e32 v8, v9, v8
	v_sub_f32_e32 v3, v3, v12
	;; [unrolled: 1-line block ×6, first 2 shown]
	v_add_f32_e32 v9, v3, v4
	v_sub_f32_e32 v7, v7, v13
	v_add_f32_e32 v7, v8, v7
	v_sub_f32_e32 v8, v9, v3
	;; [unrolled: 2-line block ×3, first 2 shown]
	v_sub_f32_e32 v4, v4, v8
	v_add_f32_e32 v11, v10, v7
	v_sub_f32_e32 v3, v3, v9
	v_sub_f32_e32 v8, v11, v10
	v_add_f32_e32 v3, v4, v3
	v_sub_f32_e32 v4, v7, v8
	v_add_f32_e32 v3, v3, v4
	v_add_f32_e32 v4, v11, v3
	v_sub_f32_e32 v7, v4, v11
	v_mul_f32_e32 v8, v5, v4
	v_sub_f32_e32 v3, v3, v7
	v_fma_f32 v4, v5, v4, -v8
	v_cmp_class_f32_e64 vcc_lo, v8, 0x204
	v_fmac_f32_e32 v4, v5, v3
	v_add_f32_e32 v3, v8, v4
	v_cndmask_b32_e32 v7, v3, v8, vcc_lo
	v_sub_f32_e32 v3, v3, v8
	v_cmp_eq_f32_e32 vcc_lo, 0x42b17218, v7
	v_sub_f32_e32 v3, v4, v3
	v_cndmask_b32_e64 v9, 0, 0x37000000, vcc_lo
	v_cmp_neq_f32_e64 vcc_lo, 0x7f800000, |v7|
	v_sub_f32_e32 v10, v7, v9
	v_cndmask_b32_e32 v3, 0, v3, vcc_lo
	v_trunc_f32_e32 v7, v5
	v_mul_f32_e32 v11, 0x3fb8aa3b, v10
	v_cmp_ngt_f32_e32 vcc_lo, 0xc2ce8ed0, v10
	v_add_f32_e32 v3, v9, v3
	v_fma_f32 v12, 0x3fb8aa3b, v10, -v11
	v_rndne_f32_e32 v13, v11
	v_fmamk_f32 v12, v10, 0x32a5705f, v12
	v_sub_f32_e32 v11, v11, v13
	v_cvt_i32_f32_e32 v8, v13
	v_add_f32_e32 v11, v11, v12
	v_exp_f32_e32 v11, v11
	v_ldexp_f32 v4, v11, v8
	v_mul_f32_e32 v8, 0.5, v5
	v_cndmask_b32_e32 v4, 0, v4, vcc_lo
	v_cmp_nlt_f32_e32 vcc_lo, 0x42b17218, v10
	v_trunc_f32_e32 v11, v8
	v_cndmask_b32_e32 v4, 0x7f800000, v4, vcc_lo
	v_cmp_eq_f32_e32 vcc_lo, v7, v5
	v_cmp_neq_f32_e64 s0, v11, v8
	v_fma_f32 v3, v4, v3, v4
	v_cmp_class_f32_e64 s1, v4, 0x204
	s_and_b32 s0, vcc_lo, s0
	v_cndmask_b32_e64 v7, 1.0, v6, s0
	v_cndmask_b32_e64 v3, v3, v4, s1
	v_cmp_gt_f32_e64 s1, 0, v5
	v_bfi_b32 v3, 0x7fffffff, v3, v7
	s_xor_b32 s1, s1, s2
	v_cndmask_b32_e64 v7, 0, v6, s0
	v_cndmask_b32_e64 v4, 0x7f800000, 0, s1
	v_cmp_class_f32_e64 s0, v6, 0x204
	v_cndmask_b32_e32 v5, 0x7fc00000, v3, vcc_lo
	v_cmp_gt_f32_e32 vcc_lo, 0, v6
	v_bfi_b32 v4, 0x7fffffff, v4, v7
	v_cndmask_b32_e32 v3, v3, v5, vcc_lo
	s_or_b32 vcc_lo, s2, s0
	v_cndmask_b32_e32 v3, v3, v4, vcc_lo
	v_cmp_o_f32_e32 vcc_lo, v6, v6
	v_cndmask_b32_e32 v77, 0x7fc00000, v3, vcc_lo
.LBB22_2:
	s_load_dwordx2 s[0:1], s[4:5], 0x4
	s_load_dwordx16 s[12:27], s[6:7], 0x0
	v_mov_b32_e32 v14, 0
	v_lshlrev_b32_e32 v72, 8, v1
	v_lshlrev_b32_e32 v74, 2, v0
	s_lshl_b32 s30, s8, 1
	s_mov_b32 s4, exec_lo
	s_waitcnt lgkmcnt(0)
	v_mul_u32_u24_e32 v3, s1, v1
	s_lshr_b32 s0, s0, 16
	s_mul_i32 s0, s0, s1
	v_mad_u32_u24 v3, s0, v0, v3
	v_cmp_lt_u32_e64 s0, 1, v1
	v_add_lshl_u32 v19, v3, v2, 4
	v_add_nc_u32_e32 v2, 0x604, v19
	v_add_nc_u32_e32 v3, 0x400, v19
	ds_write2_b32 v2, v14, v14 offset1:1
	ds_write2_b32 v3, v14, v14 offset0:128 offset1:131
	v_cmpx_gt_u32_e32 2, v1
	s_cbranch_execz .LBB22_13
; %bb.3:
	v_or_b32_e32 v2, s30, v1
	v_add_nc_u32_e32 v3, v72, v74
	s_mov_b32 s1, exec_lo
	v_cmpx_le_i32_e64 s36, v2
	s_xor_b32 s1, exec_lo, s1
	s_cbranch_execz .LBB22_7
; %bb.4:
	v_mov_b32_e32 v2, 0
	s_mov_b32 s2, exec_lo
	ds_write_b32 v3, v2
	v_cmpx_gt_u32_e32 4, v0
; %bb.5:
	v_add_nc_u32_e32 v4, v3, v74
	v_mov_b32_e32 v3, v2
	ds_write_b64 v4, v[2:3] offset:128
; %bb.6:
	s_or_b32 exec_lo, exec_lo, s2
                                        ; implicit-def: $vgpr3
.LBB22_7:
	s_andn2_saveexec_b32 s1, s1
	s_cbranch_execz .LBB22_13
; %bb.8:
	s_load_dwordx4 s[48:51], s[6:7], 0x70
	v_lshlrev_b32_e32 v4, 2, v74
	s_mov_b32 s5, exec_lo
	s_waitcnt lgkmcnt(0)
	v_mul_lo_u32 v2, s48, v1
	s_mul_i32 s1, s33, s50
	s_mul_i32 s2, s48, s30
	;; [unrolled: 1-line block ×3, first 2 shown]
	s_add_i32 s1, s1, s2
	s_add_i32 s1, s1, s3
	s_ashr_i32 s2, s1, 31
	v_ashrrev_i32_e32 v5, 31, v2
	s_add_u32 s1, s12, s1
	s_addc_u32 s2, s13, s2
	v_add_co_u32 v2, vcc_lo, s1, v2
	v_add_co_ci_u32_e64 v5, null, s2, v5, vcc_lo
	v_add_co_u32 v4, vcc_lo, v2, v4
	v_add_co_ci_u32_e64 v5, null, 0, v5, vcc_lo
	v_mbcnt_lo_u32_b32 v2, -1, 0
	global_load_dwordx4 v[10:13], v[4:5], off
	v_xor_b32_e32 v5, 4, v2
	v_xor_b32_e32 v15, 2, v2
	;; [unrolled: 1-line block ×3, first 2 shown]
	v_cmp_gt_i32_e32 vcc_lo, 32, v5
	v_cndmask_b32_e32 v5, v2, v5, vcc_lo
	v_cmp_gt_i32_e32 vcc_lo, 32, v15
	v_lshlrev_b32_e32 v5, 2, v5
	v_cndmask_b32_e32 v15, v2, v15, vcc_lo
	v_cmp_gt_i32_e32 vcc_lo, 32, v16
	v_lshlrev_b32_e32 v15, 2, v15
	v_cndmask_b32_e32 v2, v2, v16, vcc_lo
	v_lshlrev_b32_e32 v2, 2, v2
	s_waitcnt vmcnt(0)
	v_mul_f32_e32 v4, s28, v10
	v_mul_f32_e32 v6, s28, v11
	;; [unrolled: 1-line block ×4, first 2 shown]
	v_max_f32_e64 v7, |v4|, |v6|
	v_fma_f32 v10, s28, v10, v6
	v_max3_f32 v7, v7, |v9|, |v8|
	v_fmac_f32_e32 v10, s28, v12
	ds_bpermute_b32 v11, v5, v7
	v_fmac_f32_e32 v10, s28, v13
	ds_bpermute_b32 v5, v5, v10
	s_waitcnt lgkmcnt(1)
	v_max_f32_e32 v11, v11, v11
	v_max_f32_e32 v7, v7, v11
	s_waitcnt lgkmcnt(0)
	v_add_f32_e32 v5, v10, v5
	ds_bpermute_b32 v11, v15, v7
	ds_bpermute_b32 v10, v15, v5
	s_waitcnt lgkmcnt(1)
	v_max_f32_e32 v11, v11, v11
	s_waitcnt lgkmcnt(0)
	v_add_f32_e32 v5, v5, v10
	v_mov_b32_e32 v10, 0
	v_max_f32_e32 v7, v7, v11
	ds_bpermute_b32 v11, v2, v7
	s_waitcnt lgkmcnt(0)
	v_max_f32_e32 v11, v11, v11
	v_max_f32_e32 v11, v7, v11
	v_div_scale_f32 v12, null, 0x42fe0000, 0x42fe0000, v11
	v_div_scale_f32 v15, vcc_lo, v11, 0x42fe0000, v11
	v_rcp_f32_e32 v13, v12
	v_fma_f32 v7, -v12, v13, 1.0
	v_fmac_f32_e32 v13, v7, v13
	v_mul_f32_e32 v16, v15, v13
	v_fma_f32 v7, -v12, v16, v15
	v_fmac_f32_e32 v16, v7, v13
	ds_bpermute_b32 v7, v2, v5
	v_fma_f32 v2, -v12, v16, v15
	v_div_fmas_f32 v2, v2, v13, v16
	v_div_fixup_f32 v2, v2, 0x42fe0000, v11
	v_cmpx_neq_f32_e32 0, v2
	s_cbranch_execz .LBB22_10
; %bb.9:
	v_div_scale_f32 v10, null, v2, v2, v4
	v_div_scale_f32 v11, null, v2, v2, v6
	v_div_scale_f32 v13, null, v2, v2, v9
	v_rcp_f32_e32 v12, v10
	v_div_scale_f32 v15, null, v2, v2, v8
	v_rcp_f32_e32 v16, v11
	v_rcp_f32_e32 v17, v13
	v_div_scale_f32 v22, vcc_lo, v4, v2, v4
	v_rcp_f32_e32 v18, v15
	v_fma_f32 v20, -v10, v12, 1.0
	v_fma_f32 v21, -v11, v16, 1.0
	;; [unrolled: 1-line block ×3, first 2 shown]
	v_fmac_f32_e32 v12, v20, v12
	v_div_scale_f32 v20, s1, v6, v2, v6
	v_fma_f32 v24, -v15, v18, 1.0
	v_fmac_f32_e32 v16, v21, v16
	v_fmac_f32_e32 v17, v23, v17
	v_div_scale_f32 v21, s2, v9, v2, v9
	v_fmac_f32_e32 v18, v24, v18
	v_mul_f32_e32 v24, v22, v12
	v_mul_f32_e32 v25, v20, v16
	;; [unrolled: 1-line block ×3, first 2 shown]
	v_div_scale_f32 v23, s3, v8, v2, v8
	v_fma_f32 v28, -v10, v24, v22
	v_fma_f32 v29, -v11, v25, v20
	;; [unrolled: 1-line block ×3, first 2 shown]
	v_mul_f32_e32 v27, v23, v18
	v_fmac_f32_e32 v24, v28, v12
	v_fmac_f32_e32 v25, v29, v16
	;; [unrolled: 1-line block ×3, first 2 shown]
	v_fma_f32 v31, -v15, v27, v23
	v_fma_f32 v10, -v10, v24, v22
	;; [unrolled: 1-line block ×4, first 2 shown]
	v_fmac_f32_e32 v27, v31, v18
	v_div_fmas_f32 v10, v10, v12, v24
	s_mov_b32 vcc_lo, s1
	v_div_fmas_f32 v11, v11, v16, v25
	s_mov_b32 vcc_lo, s2
	v_div_fixup_f32 v4, v10, v2, v4
	v_div_fmas_f32 v12, v13, v17, v26
	v_fma_f32 v13, -v15, v27, v23
	s_mov_b32 vcc_lo, s3
	v_div_fixup_f32 v6, v11, v2, v6
	v_div_fixup_f32 v9, v12, v2, v9
	v_div_fmas_f32 v12, v13, v18, v27
	v_trunc_f32_e32 v11, v6
	v_trunc_f32_e32 v13, v9
	v_div_fixup_f32 v8, v12, v2, v8
	v_trunc_f32_e32 v12, v4
	v_sub_f32_e32 v16, v6, v11
	v_sub_f32_e32 v10, v9, v13
	v_trunc_f32_e32 v15, v8
	v_sub_f32_e32 v18, v4, v12
	v_cmp_ge_f32_e64 s1, |v10|, 0.5
	v_sub_f32_e32 v17, v8, v15
	v_cndmask_b32_e64 v10, 0, 1.0, s1
	v_cmp_ge_f32_e64 s1, |v16|, 0.5
	v_bfi_b32 v9, 0x7fffffff, v10, v9
	v_cndmask_b32_e64 v10, 0, 1.0, s1
	v_cmp_ge_f32_e64 s1, |v17|, 0.5
	v_add_f32_e32 v9, v13, v9
	v_bfi_b32 v6, 0x7fffffff, v10, v6
	v_cndmask_b32_e64 v16, 0, 1.0, s1
	v_cmp_ge_f32_e64 s1, |v18|, 0.5
	v_mov_b32_e32 v10, 8
	v_cvt_i32_f32_e32 v9, v9
	v_add_f32_e32 v6, v11, v6
	v_bfi_b32 v8, 0x7fffffff, v16, v8
	v_cndmask_b32_e64 v13, 0, 1.0, s1
	v_and_b32_e32 v9, 0xff, v9
	v_cvt_i32_f32_e32 v6, v6
	v_add_f32_e32 v8, v15, v8
	v_bfi_b32 v4, 0x7fffffff, v13, v4
	v_lshlrev_b32_e32 v9, 16, v9
	v_lshlrev_b32_sdwa v6, v10, v6 dst_sel:DWORD dst_unused:UNUSED_PAD src0_sel:DWORD src1_sel:BYTE_0
	v_cvt_i32_f32_e32 v8, v8
	v_add_f32_e32 v4, v12, v4
	v_lshl_or_b32 v8, v8, 24, v9
	v_cvt_i32_f32_e32 v4, v4
	v_and_b32_e32 v4, 0xff, v4
	v_or3_b32 v10, v8, v6, v4
.LBB22_10:
	s_or_b32 exec_lo, exec_lo, s5
	v_and_b32_e32 v4, 7, v0
	s_mov_b32 s1, exec_lo
	ds_write_b32 v3, v10
	v_cmpx_eq_u32_e32 0, v4
	s_cbranch_execz .LBB22_12
; %bb.11:
	s_waitcnt lgkmcnt(1)
	v_add_f32_e32 v3, v5, v7
	v_add_nc_u32_e32 v4, v72, v0
	ds_write_b64 v4, v[2:3] offset:128
.LBB22_12:
	s_or_b32 exec_lo, exec_lo, s1
.LBB22_13:
	s_or_b32 exec_lo, exec_lo, s4
	v_and_b32_e32 v20, 1, v0
	s_waitcnt lgkmcnt(0)
	s_barrier
	buffer_gl0_inv
	s_cmp_eq_u64 s[22:23], 0
	v_lshlrev_b32_e32 v79, 2, v20
	s_mov_b32 s31, s42
	ds_read_b128 v[2:5], v14 offset:128
	ds_read_b128 v[6:9], v14 offset:144
	ds_read2_b32 v[38:39], v79 offset1:2
	ds_read2_b32 v[40:41], v79 offset0:4 offset1:6
	ds_read2_b32 v[42:43], v79 offset0:8 offset1:10
	;; [unrolled: 1-line block ×12, first 2 shown]
	ds_read_b128 v[10:13], v14 offset:384
	ds_read_b128 v[14:17], v14 offset:400
	ds_read2_b32 v[64:65], v79 offset0:84 offset1:86
	ds_read2_b32 v[66:67], v79 offset0:88 offset1:90
	ds_read2_b32 v[68:69], v79 offset0:92 offset1:94
	s_waitcnt lgkmcnt(0)
	s_barrier
	buffer_gl0_inv
	s_cbranch_scc1 .LBB22_15
; %bb.14:
	s_load_dword s1, s[6:7], 0xd0
	s_mov_b32 s3, 0
	s_waitcnt lgkmcnt(0)
	s_mul_i32 s1, s1, s33
	s_add_i32 s2, s1, s8
	s_lshl_b64 s[2:3], s[2:3], 2
	s_add_u32 s2, s22, s2
	s_addc_u32 s3, s23, s3
	s_load_dword s31, s[2:3], 0x0
.LBB22_15:
	v_lshlrev_b32_e32 v18, 5, v1
	v_add_nc_u32_e32 v76, 0x600, v19
	v_mbcnt_lo_u32_b32 v78, -1, 0
	s_lshl_b32 s2, s34, 7
	s_mov_b32 s3, 0
	v_add_nc_u32_e32 v73, v18, v0
	s_waitcnt lgkmcnt(0)
	s_cmp_ge_i32 s2, s31
	v_lshlrev_b32_e32 v75, 1, v73
	s_cbranch_scc1 .LBB22_43
; %bb.16:
	s_clause 0x1
	s_load_dwordx4 s[8:11], s[6:7], 0x98
	s_load_dwordx2 s[12:13], s[6:7], 0x8c
	s_sub_i32 s1, 0, s39
	s_sub_i32 s4, 0, s35
	s_mul_i32 s1, s1, s44
	s_abs_i32 s22, s38
	s_mul_hi_u32 s1, s44, s1
	s_mul_i32 s4, s4, s29
	s_add_i32 s44, s44, s1
	s_ashr_i32 s23, s38, 31
	s_ashr_i32 s40, s43, 31
	;; [unrolled: 1-line block ×3, first 2 shown]
	s_mul_hi_u32 s1, s29, s4
	s_mul_hi_u32 s4, s22, s44
	s_xor_b32 s43, s23, s40
	s_add_i32 s29, s29, s1
	s_mul_i32 s1, s4, s39
	s_abs_i32 s28, s33
	s_sub_i32 s1, s22, s1
	s_add_i32 s23, s4, 1
	s_waitcnt lgkmcnt(0)
	s_mul_hi_u32 s40, s8, s33
	s_mul_i32 s44, s8, s5
	s_mul_i32 s9, s9, s33
	s_add_i32 s40, s40, s44
	v_and_b32_e32 v19, 0x7e, v0
	s_add_i32 s40, s40, s9
	s_sub_i32 s9, s1, s39
	s_cmp_ge_u32 s1, s39
	v_bfe_u32 v25, v0, 3, 27
	s_cselect_b32 s4, s23, s4
	s_cselect_b32 s1, s9, s1
	s_add_i32 s9, s4, 1
	s_cmp_ge_u32 s1, s39
	s_load_dwordx2 s[22:23], s[6:7], 0xc8
	s_cselect_b32 s1, s9, s4
	s_mul_hi_u32 s4, s28, s29
	s_xor_b32 s1, s1, s43
	s_mul_i32 s4, s4, s35
	s_sub_i32 s46, s1, s43
	s_sub_i32 s1, s28, s4
	s_mul_i32 s43, s46, s13
	s_mul_i32 s46, s46, s11
	s_ashr_i32 s44, s43, 31
	s_ashr_i32 s47, s46, 31
	s_sub_i32 s4, s1, s35
	s_cmp_ge_u32 s1, s35
	s_clause 0x1
	s_load_dword s9, s[6:7], 0xd4
	s_load_dwordx2 s[28:29], s[6:7], 0xa8
	s_cselect_b32 s1, s4, s1
	s_mul_i32 s11, s45, s30
	s_sub_i32 s4, s1, s35
	s_cmp_ge_u32 s1, s35
	v_add_nc_u32_e32 v19, v18, v19
	s_cselect_b32 s1, s4, s1
	v_mul_hi_u32_u24_e32 v26, 34, v25
	s_xor_b32 s1, s1, s5
	v_mul_u32_u24_e32 v25, 34, v25
	s_sub_i32 s1, s1, s5
	v_add_nc_u32_e32 v21, s42, v19
	s_ashr_i32 s4, s1, 31
	s_waitcnt lgkmcnt(0)
	s_mul_hi_u32 s13, s22, s1
	s_mul_i32 s4, s22, s4
	s_mul_i32 s23, s23, s1
	s_add_i32 s45, s13, s4
	s_ashr_i32 s13, s11, 31
	s_add_i32 s45, s45, s23
	s_cmp_lg_u64 s[18:19], 0
	s_mul_i32 s48, s22, s1
	s_cselect_b32 s22, -1, 0
	s_lshl_b32 s4, s9, 7
	s_cmp_lt_i32 s30, s36
	v_ashrrev_i32_e32 v22, 31, v21
	s_cselect_b32 s1, -1, 0
	v_mul_lo_u32 v27, v18, s10
	s_and_b32 s35, s22, s1
	s_or_b32 s1, s30, 1
	v_mad_u64_u32 v[25:26], null, s28, s33, v[25:26]
	s_cmp_lt_i32 s1, s36
	v_lshlrev_b64 v[21:22], 1, v[21:22]
	s_cselect_b32 s9, -1, 0
	s_mul_i32 s29, s29, s33
	s_and_b32 s39, s22, s9
	s_ashr_i32 s9, s42, 31
	v_add_co_u32 v23, s22, s42, v19
	v_add_co_ci_u32_e64 v24, null, s9, 0, s22
	s_add_u32 s49, s14, s43
	s_addc_u32 s42, s15, s44
	s_lshl_b64 s[22:23], s[2:3], 1
	v_lshlrev_b64 v[23:24], 1, v[23:24]
	s_add_u32 s9, s18, s22
	s_addc_u32 s50, s19, s23
	s_add_u32 s9, s9, s48
	s_mul_i32 s5, s28, s5
	s_addc_u32 s50, s50, s45
	v_add_co_u32 v80, vcc_lo, s9, v21
	v_and_b32_e32 v28, 28, v74
	v_ashrrev_i32_e32 v30, 31, v27
	v_add3_u32 v26, s5, s29, v26
	v_add_co_ci_u32_e64 v81, null, s50, v22, vcc_lo
	v_add_co_u32 v23, vcc_lo, s9, v23
	v_add_co_ci_u32_e64 v24, null, s50, v24, vcc_lo
	v_add_co_u32 v21, vcc_lo, v25, v27
	v_add_nc_u32_e32 v29, s10, v27
	v_add_co_ci_u32_e64 v22, null, v26, v30, vcc_lo
	v_add_co_u32 v32, vcc_lo, v25, v28
	v_add_co_ci_u32_e64 v70, null, 0, v26, vcc_lo
	v_add_co_u32 v35, vcc_lo, v25, s46
	v_ashrrev_i32_e32 v31, 31, v29
	v_add_co_ci_u32_e64 v36, null, s47, v26, vcc_lo
	v_add_co_u32 v27, vcc_lo, v32, v27
	v_add_co_ci_u32_e64 v28, null, v70, v30, vcc_lo
	v_add_co_u32 v25, vcc_lo, v35, v29
	v_add_co_ci_u32_e64 v26, null, v36, v31, vcc_lo
	v_add_co_u32 v37, vcc_lo, v32, s46
	v_add_nc_u32_e32 v32, 31, v18
	v_add_nc_u32_e32 v33, s10, v29
	v_add_co_ci_u32_e64 v70, null, s47, v70, vcc_lo
	v_add_nc_u32_e32 v71, 30, v18
	v_mul_lo_u32 v83, s10, v32
	v_cmp_eq_u32_e64 s1, 0, v20
	v_add_nc_u32_e32 v20, s10, v33
	v_ashrrev_i32_e32 v34, 31, v33
	v_add_co_u32 v29, vcc_lo, v37, v29
	v_add_co_ci_u32_e64 v30, null, v70, v31, vcc_lo
	v_add_co_u32 v31, vcc_lo, v35, v33
	v_mul_lo_u32 v85, s10, v71
	v_ashrrev_i32_e32 v84, 31, v83
	v_add_nc_u32_e32 v86, s10, v20
	v_add_co_ci_u32_e64 v32, null, v36, v34, vcc_lo
	v_add_co_u32 v33, vcc_lo, v37, v33
	v_add_nc_u32_e32 v87, 29, v18
	v_add_co_ci_u32_e64 v34, null, v70, v34, vcc_lo
	v_add_co_u32 v71, vcc_lo, v37, v83
	v_add_co_ci_u32_e64 v82, null, v70, v84, vcc_lo
	v_add_nc_u32_e32 v88, s10, v86
	v_add_co_u32 v83, vcc_lo, v35, v83
	v_mul_lo_u32 v87, s10, v87
	v_add_co_ci_u32_e64 v119, null, v36, v84, vcc_lo
	v_ashrrev_i32_e32 v84, 31, v85
	v_add_nc_u32_e32 v90, 28, v18
	v_add_nc_u32_e32 v89, s10, v88
	v_add_co_u32 v120, vcc_lo, v37, v85
	v_add_co_ci_u32_e64 v121, null, v70, v84, vcc_lo
	v_add_co_u32 v122, vcc_lo, v35, v85
	v_mul_lo_u32 v85, s10, v90
	v_add_co_ci_u32_e64 v123, null, v36, v84, vcc_lo
	v_ashrrev_i32_e32 v84, 31, v87
	v_add_nc_u32_e32 v91, s10, v89
	v_add_nc_u32_e32 v92, 27, v18
	v_add_co_u32 v124, vcc_lo, v37, v87
	v_add_co_ci_u32_e64 v125, null, v70, v84, vcc_lo
	v_add_co_u32 v126, vcc_lo, v35, v87
	v_add_nc_u32_e32 v90, s10, v91
	v_mul_lo_u32 v87, s10, v92
	v_add_co_ci_u32_e64 v127, null, v36, v84, vcc_lo
	v_ashrrev_i32_e32 v84, 31, v85
	v_add_co_u32 v128, vcc_lo, v37, v85
	v_add_nc_u32_e32 v93, s10, v90
	v_add_nc_u32_e32 v97, 26, v18
	v_add_co_ci_u32_e64 v129, null, v70, v84, vcc_lo
	v_add_co_u32 v130, vcc_lo, v35, v85
	v_add_co_ci_u32_e64 v131, null, v36, v84, vcc_lo
	v_ashrrev_i32_e32 v84, 31, v87
	v_add_nc_u32_e32 v92, s10, v93
	v_add_co_u32 v132, vcc_lo, v37, v87
	v_add_nc_u32_e32 v85, 25, v18
	v_add_co_ci_u32_e64 v133, null, v70, v84, vcc_lo
	v_add_co_u32 v134, vcc_lo, v35, v87
	v_add_nc_u32_e32 v94, s10, v92
	v_add_co_ci_u32_e64 v135, null, v36, v84, vcc_lo
	v_mul_lo_u32 v84, s10, v97
	v_add_nc_u32_e32 v98, 24, v18
	v_mul_lo_u32 v85, s10, v85
	v_add_nc_u32_e32 v95, s10, v94
	v_add_nc_u32_e32 v99, 23, v18
	;; [unrolled: 1-line block ×3, first 2 shown]
	v_mul_lo_u32 v87, s10, v98
	v_add_nc_u32_e32 v102, 20, v18
	v_ashrrev_i32_e32 v143, 31, v84
	v_add_nc_u32_e32 v96, s10, v95
	v_mul_lo_u32 v98, s10, v99
	v_add_nc_u32_e32 v99, 22, v18
	v_add_co_u32 v145, vcc_lo, v37, v84
	v_ashrrev_i32_e32 v106, 31, v85
	v_add_co_ci_u32_e64 v146, null, v70, v143, vcc_lo
	v_add_co_u32 v147, vcc_lo, v35, v84
	v_add_nc_u32_e32 v100, s10, v96
	v_add_co_ci_u32_e64 v143, null, v36, v143, vcc_lo
	v_add_co_u32 v148, vcc_lo, v37, v85
	v_mul_lo_u32 v99, s10, v99
	v_ashrrev_i32_e32 v107, 31, v87
	v_add_co_ci_u32_e64 v149, null, v70, v106, vcc_lo
	v_add_co_u32 v150, vcc_lo, v35, v85
	v_add_co_ci_u32_e64 v151, null, v36, v106, vcc_lo
	v_add_co_u32 v152, vcc_lo, v37, v87
	v_add_nc_u32_e32 v97, s10, v100
	v_mul_lo_u32 v101, s10, v101
	v_ashrrev_i32_e32 v108, 31, v98
	v_add_co_ci_u32_e64 v153, null, v70, v107, vcc_lo
	v_add_co_u32 v154, vcc_lo, v35, v87
	v_add_nc_u32_e32 v104, 19, v18
	v_add_co_ci_u32_e64 v155, null, v36, v107, vcc_lo
	v_add_co_u32 v156, vcc_lo, v37, v98
	v_mul_lo_u32 v102, s10, v102
	v_ashrrev_i32_e32 v110, 31, v99
	v_add_nc_u32_e32 v103, s10, v97
	v_add_co_ci_u32_e64 v157, null, v70, v108, vcc_lo
	v_add_co_u32 v158, vcc_lo, v35, v98
	v_add_co_ci_u32_e64 v159, null, v36, v108, vcc_lo
	v_add_co_u32 v160, vcc_lo, v37, v99
	v_mul_lo_u32 v104, s10, v104
	v_ashrrev_i32_e32 v111, 31, v101
	v_add_co_ci_u32_e64 v161, null, v70, v110, vcc_lo
	v_add_co_u32 v162, vcc_lo, v35, v99
	v_add_nc_u32_e32 v105, s10, v103
	v_add_co_ci_u32_e64 v163, null, v36, v110, vcc_lo
	v_add_co_u32 v164, vcc_lo, v37, v101
	v_ashrrev_i32_e32 v112, 31, v102
	v_add_co_ci_u32_e64 v165, null, v70, v111, vcc_lo
	v_add_co_u32 v166, vcc_lo, v35, v101
	v_add_nc_u32_e32 v109, s10, v105
	v_add_co_ci_u32_e64 v167, null, v36, v111, vcc_lo
	v_add_co_u32 v168, vcc_lo, v37, v102
	v_ashrrev_i32_e32 v113, 31, v104
	v_add_co_ci_u32_e64 v169, null, v70, v112, vcc_lo
	v_add_co_u32 v170, vcc_lo, v35, v102
	v_add_co_ci_u32_e64 v171, null, v36, v112, vcc_lo
	v_add_co_u32 v172, vcc_lo, v37, v104
	v_ashrrev_i32_e32 v114, 31, v109
	v_add_co_ci_u32_e64 v173, null, v70, v113, vcc_lo
	v_add_co_u32 v174, vcc_lo, v35, v104
	;; [unrolled: 5-line block ×15, first 2 shown]
	v_add_co_ci_u32_e64 v227, null, v36, v144, vcc_lo
	v_add_co_u32 v228, vcc_lo, v37, v88
	v_ashrrev_i32_e32 v87, 31, v20
	v_and_b32_e32 v89, 30, v78
	v_add_co_ci_u32_e64 v229, null, v70, v84, vcc_lo
	v_add_co_u32 v230, vcc_lo, v35, v88
	v_ashrrev_i32_e32 v85, 31, v86
	v_add_co_ci_u32_e64 v231, null, v36, v84, vcc_lo
	v_add_co_u32 v114, vcc_lo, v35, v20
	v_add_co_ci_u32_e64 v115, null, v36, v87, vcc_lo
	v_add_co_u32 v35, vcc_lo, v35, v86
	v_add_nc_u32_e32 v84, 2, v89
	v_xor_b32_e32 v88, 1, v78
	v_add_co_ci_u32_e64 v36, null, v36, v85, vcc_lo
	v_add_co_u32 v232, vcc_lo, v37, v86
	v_add_co_ci_u32_e64 v233, null, v70, v85, vcc_lo
	v_add_co_u32 v37, vcc_lo, v37, v20
	v_add_co_ci_u32_e64 v70, null, v70, v87, vcc_lo
	v_cmp_lt_i32_e32 vcc_lo, v88, v84
	v_xor_b32_e32 v85, 2, v78
	v_xor_b32_e32 v86, 4, v78
	;; [unrolled: 1-line block ×3, first 2 shown]
	s_mul_i32 s50, s8, s33
	v_cndmask_b32_e32 v20, v78, v88, vcc_lo
	v_cmp_gt_i32_e32 vcc_lo, 32, v85
	v_xor_b32_e32 v88, 16, v78
	s_mov_b32 s5, s3
	v_add_co_u32 v102, s3, s50, v79
	v_lshlrev_b32_e32 v84, 2, v20
	v_mul_lo_u32 v20, v19, s12
	v_cndmask_b32_e32 v85, v78, v85, vcc_lo
	v_cmp_gt_i32_e32 vcc_lo, 32, v86
	v_add_co_ci_u32_e64 v103, null, s40, 0, s3
	s_lshl_b64 s[8:9], s[4:5], 1
	v_lshlrev_b32_e32 v19, 1, v19
	v_cndmask_b32_e32 v86, v78, v86, vcc_lo
	v_cmp_gt_i32_e32 vcc_lo, 32, v87
	v_add_nc_u32_e32 v100, s12, v20
	s_add_u32 s3, s48, s22
	s_addc_u32 s5, s45, s23
	v_lshlrev_b32_e32 v89, 1, v18
	v_cndmask_b32_e32 v87, v78, v87, vcc_lo
	v_cmp_gt_i32_e32 vcc_lo, 32, v88
	v_ashrrev_i32_e32 v101, 31, v100
	s_add_u32 s3, s18, s3
	s_addc_u32 s5, s19, s5
	v_add_co_u32 v19, s3, s3, v19
	v_cndmask_b32_e32 v88, v78, v88, vcc_lo
	v_add_co_u32 v18, vcc_lo, v102, v100
	v_add_co_ci_u32_e64 v91, null, v103, v101, vcc_lo
	v_add_co_ci_u32_e64 v93, null, s5, 0, s3
	v_add_co_u32 v90, vcc_lo, s49, v18
	v_add_co_ci_u32_e64 v91, null, s42, v91, vcc_lo
	v_add_co_u32 v92, vcc_lo, v19, 2
	v_add_co_ci_u32_e64 v93, null, 0, v93, vcc_lo
	v_add_co_u32 v94, vcc_lo, v23, 2
	s_add_u32 s3, s16, s46
	v_add_co_ci_u32_e64 v95, null, 0, v24, vcc_lo
	s_addc_u32 s5, s17, s47
	v_add_co_u32 v96, vcc_lo, s3, v21
	v_add_co_ci_u32_e64 v97, null, s5, v22, vcc_lo
	v_add_co_u32 v98, vcc_lo, s3, v27
	v_add_co_ci_u32_e64 v99, null, s5, v28, vcc_lo
	;; [unrolled: 2-line block ×3, first 2 shown]
	v_ashrrev_i32_e32 v21, 31, v20
	v_add_co_u32 v18, vcc_lo, v18, v20
	s_add_u32 s3, s49, s50
	s_addc_u32 s5, s42, s40
	v_add_co_ci_u32_e64 v19, null, v19, v21, vcc_lo
	v_add_co_u32 v100, vcc_lo, s3, v100
	v_add_co_ci_u32_e64 v101, null, s5, v101, vcc_lo
	v_add_co_u32 v102, vcc_lo, s14, v18
	;; [unrolled: 2-line block ×4, first 2 shown]
	s_add_u32 s3, s50, s43
	s_addc_u32 s5, s40, s44
	v_add_co_ci_u32_e64 v107, null, s17, v30, vcc_lo
	v_add_co_u32 v108, vcc_lo, s16, v31
	s_add_u32 s3, s14, s3
	v_add_co_ci_u32_e64 v109, null, s17, v32, vcc_lo
	s_addc_u32 s5, s15, s5
	v_add_co_u32 v18, vcc_lo, s3, v20
	v_add_co_ci_u32_e64 v19, null, s5, v21, vcc_lo
	v_add_co_u32 v110, vcc_lo, s16, v33
	v_add_co_ci_u32_e64 v111, null, s17, v34, vcc_lo
	;; [unrolled: 2-line block ×53, first 2 shown]
	v_add_co_u32 v214, vcc_lo, s16, v222
	ds_read_b128 v[18:21], v76
	v_add_co_ci_u32_e64 v215, null, s17, v223, vcc_lo
	v_add_co_u32 v216, vcc_lo, s16, v224
	v_add_co_ci_u32_e64 v217, null, s17, v225, vcc_lo
	v_add_co_u32 v218, vcc_lo, s16, v226
	;; [unrolled: 2-line block ×7, first 2 shown]
	v_lshlrev_b32_e32 v85, 2, v85
	v_lshlrev_b32_e32 v86, 2, v86
	;; [unrolled: 1-line block ×4, first 2 shown]
	v_add_co_ci_u32_e64 v229, null, s17, v70, vcc_lo
	v_mov_b32_e32 v83, 0
	v_or_b32_e32 v230, 8, v79
	v_or_b32_e32 v231, 16, v79
	;; [unrolled: 1-line block ×3, first 2 shown]
	v_mov_b32_e32 v27, 0xfeffffff
	v_mov_b32_e32 v233, 0x10001
	;; [unrolled: 1-line block ×5, first 2 shown]
	s_mul_i32 s28, s10, s2
	s_mul_i32 s29, s12, s2
	;; [unrolled: 1-line block ×4, first 2 shown]
	s_mov_b32 s10, 0xbbbac73d
.LBB22_17:                              ; =>This Inner Loop Header: Depth=1
	v_add_co_u32 v22, vcc_lo, v112, s29
	v_add_co_ci_u32_e64 v23, null, 0, v113, vcc_lo
	v_add_co_u32 v24, vcc_lo, v102, s29
	v_add_co_ci_u32_e64 v25, null, 0, v103, vcc_lo
	s_clause 0x2
	global_load_dwordx2 v[34:35], v[22:23], off offset:-76
	global_load_dwordx2 v[236:237], v[22:23], off offset:-52
	;; [unrolled: 1-line block ×3, first 2 shown]
	global_load_dword v28, v[24:25], off offset:8
	s_waitcnt vmcnt(3)
	v_ashrrev_i32_e32 v30, v79, v35
	s_waitcnt vmcnt(2)
	v_cvt_f32_f16_e32 v235, v236
	s_waitcnt vmcnt(0)
	v_and_b32_e32 v29, 0xf0f0f0f, v28
	v_lshrrev_b32_e32 v28, 4, v28
	v_lshlrev_b32_e32 v31, 4, v30
	v_lshlrev_b32_e32 v32, 11, v30
	;; [unrolled: 1-line block ×4, first 2 shown]
	v_and_b32_e32 v28, 0xf0f0f0f, v28
	v_and_b32_e32 v31, 16, v31
	;; [unrolled: 1-line block ×5, first 2 shown]
	v_or3_b32 v29, v30, v29, v33
	v_cvt_f32_f16_e32 v33, v34
	v_or3_b32 v29, v29, v31, v32
	v_cvt_f32_f16_sdwa v32, v34 dst_sel:DWORD dst_unused:UNUSED_PAD src0_sel:WORD_1
	global_load_dword v34, v[24:25], off offset:16
	v_ashrrev_i32_e32 v31, v230, v35
	v_lshlrev_b32_e32 v36, 4, v31
	v_lshlrev_b32_e32 v37, 11, v31
	v_lshlrev_b32_e32 v70, 18, v31
	v_lshlrev_b32_e32 v31, 25, v31
	v_and_b32_e32 v36, 16, v36
	v_and_b32_e32 v37, 0x1000, v37
	;; [unrolled: 1-line block ×4, first 2 shown]
	v_or3_b32 v31, v70, v31, v36
	s_waitcnt vmcnt(0)
	v_and_b32_e32 v30, 0xf0f0f0f, v34
	v_or3_b32 v30, v31, v37, v30
	v_ashrrev_i32_e32 v31, v231, v35
	v_lshlrev_b32_e32 v36, 4, v31
	v_lshlrev_b32_e32 v37, 11, v31
	;; [unrolled: 1-line block ×4, first 2 shown]
	v_and_b32_e32 v36, 16, v36
	v_and_b32_e32 v37, 0x1000, v37
	;; [unrolled: 1-line block ×4, first 2 shown]
	v_or3_b32 v28, v31, v28, v70
	v_or3_b32 v31, v28, v36, v37
	v_lshrrev_b32_e32 v28, 4, v34
	v_ashrrev_i32_e32 v34, v232, v35
	v_and_b32_e32 v28, 0xf0f0f0f, v28
	v_lshlrev_b32_e32 v35, 4, v34
	v_lshlrev_b32_e32 v36, 11, v34
	;; [unrolled: 1-line block ×4, first 2 shown]
	v_and_b32_e32 v35, 16, v35
	v_and_b32_e32 v36, 0x1000, v36
	;; [unrolled: 1-line block ×4, first 2 shown]
	v_or3_b32 v34, v37, v34, v35
	v_or3_b32 v34, v34, v36, v28
	global_load_dword v28, v[24:25], off offset:32
	v_ashrrev_i32_e32 v36, v79, v237
	v_lshlrev_b32_e32 v37, 4, v36
	v_lshlrev_b32_e32 v70, 11, v36
	;; [unrolled: 1-line block ×4, first 2 shown]
	v_and_b32_e32 v37, 16, v37
	v_and_b32_e32 v70, 0x1000, v70
	;; [unrolled: 1-line block ×4, first 2 shown]
	s_waitcnt vmcnt(0)
	v_and_b32_e32 v35, 0xf0f0f0f, v28
	v_lshrrev_b32_e32 v28, 4, v28
	v_or3_b32 v35, v36, v35, v71
	v_cvt_f32_f16_sdwa v71, v236 dst_sel:DWORD dst_unused:UNUSED_PAD src0_sel:WORD_1
	v_and_b32_e32 v28, 0xf0f0f0f, v28
	v_or3_b32 v35, v35, v37, v70
	global_load_dword v70, v[24:25], off offset:40
	v_ashrrev_i32_e32 v37, v230, v237
	v_lshlrev_b32_e32 v236, 4, v37
	v_lshlrev_b32_e32 v238, 11, v37
	;; [unrolled: 1-line block ×4, first 2 shown]
	v_and_b32_e32 v236, 16, v236
	v_and_b32_e32 v238, 0x1000, v238
	;; [unrolled: 1-line block ×4, first 2 shown]
	v_or3_b32 v37, v239, v37, v236
	s_waitcnt vmcnt(0)
	v_and_b32_e32 v36, 0xf0f0f0f, v70
	v_or3_b32 v36, v37, v238, v36
	v_ashrrev_i32_e32 v37, v231, v237
	v_lshlrev_b32_e32 v236, 4, v37
	v_lshlrev_b32_e32 v238, 11, v37
	;; [unrolled: 1-line block ×4, first 2 shown]
	v_and_b32_e32 v236, 16, v236
	v_and_b32_e32 v238, 0x1000, v238
	;; [unrolled: 1-line block ×4, first 2 shown]
	v_or3_b32 v28, v37, v28, v239
	v_or3_b32 v37, v28, v236, v238
	v_lshrrev_b32_e32 v28, 4, v70
	v_ashrrev_i32_e32 v70, v232, v237
	v_and_b32_e32 v28, 0xf0f0f0f, v28
	v_lshlrev_b32_e32 v236, 4, v70
	v_lshlrev_b32_e32 v237, 11, v70
	;; [unrolled: 1-line block ×4, first 2 shown]
	v_and_b32_e32 v236, 16, v236
	v_and_b32_e32 v237, 0x1000, v237
	v_and_b32_e32 v238, 0x100000, v238
	v_and_b32_e32 v70, 0x10000000, v70
	v_or3_b32 v70, v238, v70, v236
	v_or3_b32 v70, v70, v237, v28
	global_load_dword v28, v[24:25], off offset:56
	v_ashrrev_i32_e32 v237, v79, v241
	v_lshlrev_b32_e32 v238, 4, v237
	v_lshlrev_b32_e32 v239, 11, v237
	;; [unrolled: 1-line block ×4, first 2 shown]
	v_and_b32_e32 v238, 16, v238
	v_and_b32_e32 v239, 0x1000, v239
	;; [unrolled: 1-line block ×4, first 2 shown]
	s_waitcnt vmcnt(0)
	v_and_b32_e32 v236, 0xf0f0f0f, v28
	v_lshrrev_b32_e32 v28, 4, v28
	v_or3_b32 v236, v237, v236, v242
	global_load_dword v242, v[24:25], off offset:64
	v_and_b32_e32 v28, 0xf0f0f0f, v28
	v_or3_b32 v236, v236, v238, v239
	v_cvt_f32_f16_e32 v239, v240
	v_cvt_f32_f16_sdwa v238, v240 dst_sel:DWORD dst_unused:UNUSED_PAD src0_sel:WORD_1
	v_ashrrev_i32_e32 v240, v230, v241
	v_lshlrev_b32_e32 v243, 4, v240
	v_lshlrev_b32_e32 v244, 11, v240
	;; [unrolled: 1-line block ×4, first 2 shown]
	v_and_b32_e32 v243, 16, v243
	v_and_b32_e32 v244, 0x1000, v244
	;; [unrolled: 1-line block ×4, first 2 shown]
	v_or3_b32 v240, v245, v240, v243
	s_waitcnt vmcnt(0)
	v_and_b32_e32 v237, 0xf0f0f0f, v242
	v_or3_b32 v237, v240, v244, v237
	v_ashrrev_i32_e32 v240, v231, v241
	v_ashrrev_i32_e32 v241, v232, v241
	v_lshlrev_b32_e32 v243, 4, v240
	v_lshlrev_b32_e32 v244, 11, v240
	;; [unrolled: 1-line block ×4, first 2 shown]
	v_and_b32_e32 v243, 16, v243
	v_and_b32_e32 v244, 0x1000, v244
	;; [unrolled: 1-line block ×4, first 2 shown]
	v_or3_b32 v28, v240, v28, v245
	v_or3_b32 v240, v28, v243, v244
	v_lshrrev_b32_e32 v28, 4, v242
	v_lshlrev_b32_e32 v242, 4, v241
	v_lshlrev_b32_e32 v243, 11, v241
	v_lshlrev_b32_e32 v244, 18, v241
	v_lshlrev_b32_e32 v241, 25, v241
	v_and_b32_e32 v28, 0xf0f0f0f, v28
	v_and_b32_e32 v242, 16, v242
	;; [unrolled: 1-line block ×5, first 2 shown]
	v_or3_b32 v241, v244, v241, v242
	v_or3_b32 v241, v241, v243, v28
	global_load_dwordx2 v[242:243], v[22:23], off offset:-4
	global_load_dword v28, v[24:25], off offset:80
	s_waitcnt vmcnt(1)
	v_ashrrev_i32_e32 v22, v79, v243
	s_waitcnt vmcnt(0)
	v_and_b32_e32 v244, 0xf0f0f0f, v28
	v_lshlrev_b32_e32 v23, 4, v22
	v_lshlrev_b32_e32 v245, 11, v22
	;; [unrolled: 1-line block ×4, first 2 shown]
	v_and_b32_e32 v23, 16, v23
	v_and_b32_e32 v245, 0x1000, v245
	;; [unrolled: 1-line block ×4, first 2 shown]
	v_or3_b32 v22, v22, v244, v246
	global_load_dword v244, v[24:25], off offset:88
	v_ashrrev_i32_e32 v25, v230, v243
	v_or3_b32 v23, v22, v23, v245
	v_cvt_f32_f16_e32 v22, v242
	v_lshlrev_b32_e32 v245, 4, v25
	v_lshlrev_b32_e32 v246, 11, v25
	v_lshlrev_b32_e32 v247, 18, v25
	v_lshlrev_b32_e32 v25, 25, v25
	v_cvt_f32_f16_sdwa v242, v242 dst_sel:DWORD dst_unused:UNUSED_PAD src0_sel:WORD_1
	v_and_b32_e32 v245, 16, v245
	v_and_b32_e32 v246, 0x1000, v246
	v_and_b32_e32 v247, 0x100000, v247
	v_and_b32_e32 v25, 0x10000000, v25
	v_or3_b32 v25, v247, v25, v245
	s_waitcnt vmcnt(0)
	v_and_b32_e32 v24, 0xf0f0f0f, v244
	v_or3_b32 v24, v25, v246, v24
	v_lshrrev_b32_e32 v25, 4, v28
	v_ashrrev_i32_e32 v28, v231, v243
	v_ashrrev_i32_e32 v243, v232, v243
	v_and_b32_e32 v25, 0xf0f0f0f, v25
	v_lshlrev_b32_e32 v245, 4, v28
	v_lshlrev_b32_e32 v246, 11, v28
	;; [unrolled: 1-line block ×4, first 2 shown]
	v_and_b32_e32 v245, 16, v245
	v_and_b32_e32 v246, 0x1000, v246
	;; [unrolled: 1-line block ×4, first 2 shown]
	v_or3_b32 v25, v28, v25, v247
	v_lshrrev_b32_e32 v28, 4, v244
	v_lshlrev_b32_e32 v244, 4, v243
	v_or3_b32 v25, v25, v245, v246
	v_lshlrev_b32_e32 v245, 11, v243
	v_lshlrev_b32_e32 v246, 18, v243
	;; [unrolled: 1-line block ×3, first 2 shown]
	v_and_b32_e32 v244, 16, v244
	v_and_b32_e32 v28, 0xf0f0f0f, v28
	;; [unrolled: 1-line block ×5, first 2 shown]
	v_or3_b32 v243, v246, v243, v244
	v_mov_b32_e32 v246, 0
	v_mul_f32_e32 v244, v2, v33
	v_or3_b32 v243, v243, v245, v28
	v_mov_b32_e32 v28, 0
	v_mul_f32_e32 v245, v3, v32
	v_dot4c_i32_i8 v246, v30, v39
	v_dot4c_i32_i8 v28, v29, v38
	v_mul_f32_e32 v245, 0x3e000000, v245
	v_cvt_f32_i32_e32 v246, v246
	v_cvt_f32_i32_e32 v28, v28
	v_fma_f32 v246, v244, v246, v245
	v_fma_f32 v28, v244, v28, v245
	v_add_f32_e32 v28, 0, v28
	v_add_f32_e32 v28, v28, v246
	v_mov_b32_e32 v246, 0
	v_dot4c_i32_i8 v246, v31, v40
	v_cvt_f32_i32_e32 v246, v246
	v_fma_f32 v246, v244, v246, v245
	v_add_f32_e32 v28, v246, v28
	v_mov_b32_e32 v246, 0
	v_dot4c_i32_i8 v246, v34, v41
	v_cvt_f32_i32_e32 v246, v246
	v_fmac_f32_e32 v245, v244, v246
	v_mov_b32_e32 v244, 0
	v_mul_f32_e32 v246, v5, v71
	v_add_f32_e32 v28, v28, v245
	v_dot4c_i32_i8 v244, v35, v42
	v_mul_f32_e32 v245, v4, v235
	v_mul_f32_e32 v246, 0x3e000000, v246
	v_cvt_f32_i32_e32 v244, v244
	v_fma_f32 v244, v245, v244, v246
	v_add_f32_e32 v28, v28, v244
	v_mov_b32_e32 v244, 0
	v_dot4c_i32_i8 v244, v36, v43
	v_cvt_f32_i32_e32 v244, v244
	v_fma_f32 v244, v245, v244, v246
	v_add_f32_e32 v28, v28, v244
	v_mov_b32_e32 v244, 0
	v_dot4c_i32_i8 v244, v37, v44
	;; [unrolled: 5-line block ×3, first 2 shown]
	v_cvt_f32_i32_e32 v244, v244
	v_fmac_f32_e32 v246, v245, v244
	v_mov_b32_e32 v244, 0
	v_mul_f32_e32 v245, v6, v239
	v_add_f32_e32 v28, v28, v246
	v_dot4c_i32_i8 v244, v236, v46
	v_mul_f32_e32 v246, v7, v238
	v_cvt_f32_i32_e32 v244, v244
	v_mul_f32_e32 v246, 0x3e000000, v246
	v_fma_f32 v244, v245, v244, v246
	v_add_f32_e32 v28, v28, v244
	v_mov_b32_e32 v244, 0
	v_dot4c_i32_i8 v244, v237, v47
	v_cvt_f32_i32_e32 v244, v244
	v_fma_f32 v244, v245, v244, v246
	v_add_f32_e32 v28, v28, v244
	v_mov_b32_e32 v244, 0
	v_dot4c_i32_i8 v244, v240, v48
	v_cvt_f32_i32_e32 v244, v244
	;; [unrolled: 5-line block ×3, first 2 shown]
	v_fmac_f32_e32 v246, v245, v244
	v_mov_b32_e32 v244, 0
	v_mul_f32_e32 v245, v8, v22
	v_add_f32_e32 v28, v28, v246
	v_dot4c_i32_i8 v244, v23, v50
	v_mul_f32_e32 v246, v9, v242
	v_cvt_f32_i32_e32 v244, v244
	v_mul_f32_e32 v246, 0x3e000000, v246
	v_fma_f32 v244, v245, v244, v246
	v_add_f32_e32 v28, v28, v244
	v_mov_b32_e32 v244, 0
	v_dot4c_i32_i8 v244, v24, v51
	v_cvt_f32_i32_e32 v244, v244
	v_fma_f32 v244, v245, v244, v246
	v_add_f32_e32 v28, v28, v244
	v_mov_b32_e32 v244, 0
	v_dot4c_i32_i8 v244, v25, v52
	v_cvt_f32_i32_e32 v244, v244
	;; [unrolled: 5-line block ×3, first 2 shown]
	v_fmac_f32_e32 v246, v245, v244
	v_add_f32_e32 v28, v28, v246
	ds_bpermute_b32 v244, v84, v28
	s_waitcnt lgkmcnt(0)
	v_add_f32_e32 v28, v28, v244
                                        ; implicit-def: $vgpr244
	v_cmp_ngt_f32_e64 s12, 0x3f200000, |v28|
	s_and_saveexec_b32 s14, s12
	s_xor_b32 s12, exec_lo, s14
	s_cbranch_execz .LBB22_19
; %bb.18:                               ;   in Loop: Header=BB22_17 Depth=1
	v_add_f32_e64 v244, |v28|, |v28|
	v_mul_f32_e32 v245, 0x3fb8aa3b, v244
	v_cmp_ngt_f32_e32 vcc_lo, 0xc2ce8ed0, v244
	v_rndne_f32_e32 v246, v245
	v_fma_f32 v247, 0x3fb8aa3b, v244, -v245
	v_sub_f32_e32 v245, v245, v246
	v_fmac_f32_e32 v247, 0x32a5705f, v244
	v_cvt_i32_f32_e32 v246, v246
	v_add_f32_e32 v245, v245, v247
	v_exp_f32_e32 v245, v245
	v_ldexp_f32 v245, v245, v246
	v_cndmask_b32_e32 v245, 0, v245, vcc_lo
	v_cmp_nlt_f32_e32 vcc_lo, 0x42b17218, v244
	v_cndmask_b32_e32 v244, 0x7f800000, v245, vcc_lo
	v_add_f32_e32 v244, 1.0, v244
	v_rcp_f32_e32 v244, v244
	v_fma_f32 v244, v244, -2.0, 1.0
.LBB22_19:                              ;   in Loop: Header=BB22_17 Depth=1
	s_andn2_saveexec_b32 s12, s12
	s_cbranch_execz .LBB22_21
; %bb.20:                               ;   in Loop: Header=BB22_17 Depth=1
	v_mul_f32_e32 v244, v28, v28
	v_fmaak_f32 v245, s10, v244, 0x3ca908c9
	v_fmaak_f32 v245, v244, v245, 0xbd5c1c4e
	;; [unrolled: 1-line block ×4, first 2 shown]
	v_mul_f32_e64 v245, |v28|, v245
	v_fma_f32 v244, v244, v245, |v28|
.LBB22_21:                              ;   in Loop: Header=BB22_17 Depth=1
	s_or_b32 exec_lo, exec_lo, s12
	v_bfi_b32 v28, 0x7fffffff, v244, v28
	s_andn2_b32 vcc_lo, exec_lo, s35
	v_mul_f32_e32 v28, s41, v28
	s_cbranch_vccnz .LBB22_23
; %bb.22:                               ;   in Loop: Header=BB22_17 Depth=1
	v_add_co_u32 v244, vcc_lo, v92, s11
	v_add_co_ci_u32_e64 v245, null, s13, v93, vcc_lo
	global_load_ushort v244, v[244:245], off offset:-2
	s_waitcnt vmcnt(0)
	v_fma_mix_f32 v28, v77, v244, v28 op_sel_hi:[0,1,0]
.LBB22_23:                              ;   in Loop: Header=BB22_17 Depth=1
	v_mov_b32_e32 v244, 0
	v_mul_f32_e32 v32, v11, v32
	v_mov_b32_e32 v245, 0
	v_mul_f32_e32 v33, v10, v33
	v_mov_b32_e32 v246, 0
	v_dot4c_i32_i8 v244, v29, v54
	v_mul_f32_e32 v32, 0x3e000000, v32
	v_dot4c_i32_i8 v245, v30, v55
	v_mov_b32_e32 v29, 0
	v_dot4c_i32_i8 v246, v31, v56
	v_cvt_f32_i32_e32 v30, v244
	v_mov_b32_e32 v247, 0
	v_cvt_f32_i32_e32 v31, v245
	v_dot4c_i32_i8 v29, v34, v57
	v_cvt_f32_i32_e32 v34, v246
	v_fma_f32 v30, v33, v30, v32
	v_mul_f32_e32 v71, v13, v71
	v_fma_f32 v31, v33, v31, v32
	v_mov_b32_e32 v244, 0
	v_dot4c_i32_i8 v247, v35, v58
	v_add_f32_e32 v30, 0, v30
	v_cvt_f32_i32_e32 v29, v29
	v_fma_f32 v34, v33, v34, v32
	v_mul_f32_e32 v235, v12, v235
	v_mov_b32_e32 v245, 0
	v_add_f32_e32 v30, v30, v31
	v_mul_f32_e32 v31, 0x3e000000, v71
	v_dot4c_i32_i8 v244, v36, v59
	v_cvt_f32_i32_e32 v35, v247
	v_fmac_f32_e32 v32, v33, v29
	v_add_f32_e32 v29, v34, v30
	v_mov_b32_e32 v30, 0
	v_dot4c_i32_i8 v245, v37, v60
	v_cvt_f32_i32_e32 v33, v244
	v_fma_f32 v34, v235, v35, v31
	v_add_f32_e32 v29, v29, v32
	v_mov_b32_e32 v32, 0
	v_dot4c_i32_i8 v30, v70, v61
	v_cvt_f32_i32_e32 v35, v245
	v_fma_f32 v33, v235, v33, v31
	v_add_f32_e32 v29, v29, v34
	v_mul_f32_e32 v36, v15, v238
	v_cvt_f32_i32_e32 v30, v30
	v_fma_f32 v35, v235, v35, v31
	v_dot4c_i32_i8 v32, v236, v62
	v_add_f32_e32 v29, v29, v33
	v_mov_b32_e32 v33, 0
	v_mul_f32_e32 v34, v14, v239
	v_mov_b32_e32 v37, 0
	v_fmac_f32_e32 v31, v235, v30
	v_add_f32_e32 v29, v35, v29
	v_cvt_f32_i32_e32 v30, v32
	v_mul_f32_e32 v32, 0x3e000000, v36
	v_dot4c_i32_i8 v33, v237, v63
	v_dot4c_i32_i8 v37, v240, v64
	v_add_f32_e32 v29, v29, v31
	v_mul_f32_e32 v22, v16, v22
	v_fma_f32 v30, v34, v30, v32
	v_cvt_f32_i32_e32 v31, v33
	v_mov_b32_e32 v33, 0
	v_cvt_f32_i32_e32 v35, v37
	v_add_f32_e32 v29, v29, v30
	v_fma_f32 v30, v34, v31, v32
	v_dot4c_i32_i8 v33, v241, v65
	v_mov_b32_e32 v31, 0
	v_fma_f32 v35, v34, v35, v32
	v_add_f32_e32 v29, v29, v30
	v_cvt_f32_i32_e32 v30, v33
	v_mul_f32_e32 v33, v17, v242
	v_dot4c_i32_i8 v31, v23, v66
	v_mov_b32_e32 v23, 0
	v_add_f32_e32 v29, v35, v29
	v_fmac_f32_e32 v32, v34, v30
	v_cvt_f32_i32_e32 v30, v31
	v_mul_f32_e32 v31, 0x3e000000, v33
	v_dot4c_i32_i8 v23, v24, v67
	v_mov_b32_e32 v24, 0
	v_add_f32_e32 v29, v29, v32
	v_fma_f32 v30, v22, v30, v31
	v_cvt_f32_i32_e32 v23, v23
	v_dot4c_i32_i8 v24, v25, v68
	v_mov_b32_e32 v25, 0
	v_add_f32_e32 v29, v29, v30
	v_fma_f32 v23, v22, v23, v31
	v_cvt_f32_i32_e32 v24, v24
	v_dot4c_i32_i8 v25, v243, v69
	v_add_f32_e32 v23, v29, v23
	v_fma_f32 v24, v22, v24, v31
	v_cvt_f32_i32_e32 v25, v25
	v_add_f32_e32 v23, v24, v23
	v_fmac_f32_e32 v31, v22, v25
	v_add_f32_e32 v22, v23, v31
	ds_bpermute_b32 v23, v84, v22
	s_waitcnt lgkmcnt(0)
	v_add_f32_e32 v22, v22, v23
                                        ; implicit-def: $vgpr23
	v_cmp_ngt_f32_e64 s12, 0x3f200000, |v22|
	s_and_saveexec_b32 s14, s12
	s_xor_b32 s12, exec_lo, s14
	s_cbranch_execz .LBB22_25
; %bb.24:                               ;   in Loop: Header=BB22_17 Depth=1
	v_add_f32_e64 v23, |v22|, |v22|
	v_mul_f32_e32 v24, 0x3fb8aa3b, v23
	v_cmp_ngt_f32_e32 vcc_lo, 0xc2ce8ed0, v23
	v_rndne_f32_e32 v25, v24
	v_fma_f32 v29, 0x3fb8aa3b, v23, -v24
	v_sub_f32_e32 v24, v24, v25
	v_fmac_f32_e32 v29, 0x32a5705f, v23
	v_cvt_i32_f32_e32 v25, v25
	v_add_f32_e32 v24, v24, v29
	v_exp_f32_e32 v24, v24
	v_ldexp_f32 v24, v24, v25
	v_cndmask_b32_e32 v24, 0, v24, vcc_lo
	v_cmp_nlt_f32_e32 vcc_lo, 0x42b17218, v23
	v_cndmask_b32_e32 v23, 0x7f800000, v24, vcc_lo
	v_add_f32_e32 v23, 1.0, v23
	v_rcp_f32_e32 v23, v23
	v_fma_f32 v23, v23, -2.0, 1.0
.LBB22_25:                              ;   in Loop: Header=BB22_17 Depth=1
	s_andn2_saveexec_b32 s12, s12
	s_cbranch_execz .LBB22_27
; %bb.26:                               ;   in Loop: Header=BB22_17 Depth=1
	v_mul_f32_e32 v23, v22, v22
	v_fmaak_f32 v24, s10, v23, 0x3ca908c9
	v_fmaak_f32 v24, v23, v24, 0xbd5c1c4e
	;; [unrolled: 1-line block ×4, first 2 shown]
	v_mul_f32_e64 v24, |v22|, v24
	v_fma_f32 v23, v23, v24, |v22|
.LBB22_27:                              ;   in Loop: Header=BB22_17 Depth=1
	s_or_b32 exec_lo, exec_lo, s12
	v_bfi_b32 v22, 0x7fffffff, v23, v22
	s_andn2_b32 vcc_lo, exec_lo, s39
	v_mul_f32_e32 v29, s41, v22
	s_cbranch_vccnz .LBB22_29
; %bb.28:                               ;   in Loop: Header=BB22_17 Depth=1
	v_add_co_u32 v22, vcc_lo, v80, s11
	v_add_co_ci_u32_e64 v23, null, s13, v81, vcc_lo
	global_load_ushort v22, v[22:23], off
	s_waitcnt vmcnt(0)
	v_fma_mix_f32 v29, v77, v22, v29 op_sel_hi:[0,1,0]
.LBB22_29:                              ;   in Loop: Header=BB22_17 Depth=1
	v_add_co_u32 v24, vcc_lo, v100, s29
	v_add_co_ci_u32_e64 v25, null, 0, v101, vcc_lo
	v_add_co_u32 v22, vcc_lo, v90, s29
	v_add_co_ci_u32_e64 v23, null, 0, v91, vcc_lo
	global_load_dwordx2 v[35:36], v[24:25], off
	s_clause 0x2
	global_load_dword v32, v[22:23], off offset:8
	global_load_dword v237, v[22:23], off offset:32
	;; [unrolled: 1-line block ×3, first 2 shown]
	s_waitcnt vmcnt(3)
	v_ashrrev_i32_e32 v31, v79, v36
	s_waitcnt vmcnt(2)
	v_and_b32_e32 v30, 0xf0f0f0f, v32
	v_lshrrev_b32_e32 v32, 4, v32
	v_lshlrev_b32_e32 v33, 4, v31
	v_lshlrev_b32_e32 v34, 11, v31
	;; [unrolled: 1-line block ×4, first 2 shown]
	v_and_b32_e32 v32, 0xf0f0f0f, v32
	v_and_b32_e32 v33, 16, v33
	;; [unrolled: 1-line block ×5, first 2 shown]
	v_or3_b32 v30, v31, v30, v37
	v_ashrrev_i32_e32 v37, v230, v36
	v_or3_b32 v30, v30, v33, v34
	v_cvt_f32_f16_e32 v34, v35
	v_cvt_f32_f16_sdwa v33, v35 dst_sel:DWORD dst_unused:UNUSED_PAD src0_sel:WORD_1
	global_load_dword v35, v[22:23], off offset:16
	v_lshlrev_b32_e32 v70, 4, v37
	v_lshlrev_b32_e32 v71, 11, v37
	;; [unrolled: 1-line block ×4, first 2 shown]
	v_and_b32_e32 v70, 16, v70
	v_and_b32_e32 v71, 0x1000, v71
	;; [unrolled: 1-line block ×4, first 2 shown]
	v_or3_b32 v37, v235, v37, v70
	s_waitcnt vmcnt(0)
	v_and_b32_e32 v31, 0xf0f0f0f, v35
	v_lshrrev_b32_e32 v35, 4, v35
	v_or3_b32 v31, v37, v71, v31
	v_ashrrev_i32_e32 v37, v231, v36
	v_ashrrev_i32_e32 v36, v232, v36
	v_and_b32_e32 v35, 0xf0f0f0f, v35
	v_lshlrev_b32_e32 v70, 4, v37
	v_lshlrev_b32_e32 v71, 11, v37
	;; [unrolled: 1-line block ×4, first 2 shown]
	v_and_b32_e32 v70, 16, v70
	v_and_b32_e32 v71, 0x1000, v71
	;; [unrolled: 1-line block ×4, first 2 shown]
	v_or3_b32 v32, v37, v32, v235
	v_lshlrev_b32_e32 v37, 4, v36
	v_or3_b32 v32, v32, v70, v71
	v_lshlrev_b32_e32 v70, 11, v36
	v_lshlrev_b32_e32 v71, 18, v36
	;; [unrolled: 1-line block ×3, first 2 shown]
	v_and_b32_e32 v37, 16, v37
	v_and_b32_e32 v70, 0x1000, v70
	;; [unrolled: 1-line block ×4, first 2 shown]
	v_or3_b32 v36, v71, v36, v37
	v_or3_b32 v35, v36, v70, v35
	global_load_dwordx2 v[70:71], v[24:25], off offset:24
	v_and_b32_e32 v36, 0xf0f0f0f, v237
	s_waitcnt vmcnt(0)
	v_ashrrev_i32_e32 v37, v79, v71
	v_lshlrev_b32_e32 v235, 4, v37
	v_lshlrev_b32_e32 v236, 11, v37
	;; [unrolled: 1-line block ×4, first 2 shown]
	v_and_b32_e32 v235, 16, v235
	v_and_b32_e32 v236, 0x1000, v236
	;; [unrolled: 1-line block ×4, first 2 shown]
	v_or3_b32 v36, v37, v36, v238
	global_load_dword v238, v[22:23], off offset:40
	v_or3_b32 v36, v36, v235, v236
	v_cvt_f32_f16_e32 v236, v70
	v_cvt_f32_f16_sdwa v235, v70 dst_sel:DWORD dst_unused:UNUSED_PAD src0_sel:WORD_1
	v_ashrrev_i32_e32 v70, v230, v71
	v_lshlrev_b32_e32 v239, 4, v70
	v_lshlrev_b32_e32 v240, 11, v70
	;; [unrolled: 1-line block ×4, first 2 shown]
	v_and_b32_e32 v239, 16, v239
	v_and_b32_e32 v240, 0x1000, v240
	;; [unrolled: 1-line block ×4, first 2 shown]
	v_or3_b32 v70, v241, v70, v239
	s_waitcnt vmcnt(0)
	v_and_b32_e32 v37, 0xf0f0f0f, v238
	v_or3_b32 v37, v70, v240, v37
	v_lshrrev_b32_e32 v70, 4, v237
	v_ashrrev_i32_e32 v237, v231, v71
	v_ashrrev_i32_e32 v71, v232, v71
	v_and_b32_e32 v70, 0xf0f0f0f, v70
	v_lshlrev_b32_e32 v239, 4, v237
	v_lshlrev_b32_e32 v240, 11, v237
	v_lshlrev_b32_e32 v241, 18, v237
	v_lshlrev_b32_e32 v237, 25, v237
	v_and_b32_e32 v239, 16, v239
	v_and_b32_e32 v240, 0x1000, v240
	;; [unrolled: 1-line block ×4, first 2 shown]
	v_or3_b32 v70, v237, v70, v241
	global_load_dwordx2 v[241:242], v[24:25], off offset:48
	v_lshrrev_b32_e32 v237, 4, v238
	v_lshlrev_b32_e32 v238, 4, v71
	v_or3_b32 v70, v70, v239, v240
	v_lshlrev_b32_e32 v239, 11, v71
	v_lshlrev_b32_e32 v240, 18, v71
	;; [unrolled: 1-line block ×3, first 2 shown]
	v_and_b32_e32 v238, 16, v238
	v_and_b32_e32 v237, 0xf0f0f0f, v237
	;; [unrolled: 1-line block ×5, first 2 shown]
	v_or3_b32 v71, v240, v71, v238
	v_or3_b32 v71, v71, v239, v237
	v_and_b32_e32 v237, 0xf0f0f0f, v243
	s_waitcnt vmcnt(0)
	v_ashrrev_i32_e32 v238, v79, v242
	v_lshlrev_b32_e32 v239, 4, v238
	v_lshlrev_b32_e32 v240, 11, v238
	;; [unrolled: 1-line block ×4, first 2 shown]
	v_and_b32_e32 v239, 16, v239
	v_and_b32_e32 v240, 0x1000, v240
	;; [unrolled: 1-line block ×4, first 2 shown]
	v_or3_b32 v237, v238, v237, v244
	global_load_dword v244, v[22:23], off offset:64
	v_or3_b32 v237, v237, v239, v240
	v_cvt_f32_f16_e32 v240, v241
	v_cvt_f32_f16_sdwa v239, v241 dst_sel:DWORD dst_unused:UNUSED_PAD src0_sel:WORD_1
	v_ashrrev_i32_e32 v241, v230, v242
	v_lshlrev_b32_e32 v245, 4, v241
	v_lshlrev_b32_e32 v246, 11, v241
	;; [unrolled: 1-line block ×4, first 2 shown]
	v_and_b32_e32 v245, 16, v245
	v_and_b32_e32 v246, 0x1000, v246
	;; [unrolled: 1-line block ×4, first 2 shown]
	v_or3_b32 v241, v247, v241, v245
	s_waitcnt vmcnt(0)
	v_and_b32_e32 v238, 0xf0f0f0f, v244
	v_or3_b32 v238, v241, v246, v238
	v_lshrrev_b32_e32 v241, 4, v243
	v_ashrrev_i32_e32 v243, v231, v242
	v_ashrrev_i32_e32 v242, v232, v242
	v_and_b32_e32 v241, 0xf0f0f0f, v241
	v_lshlrev_b32_e32 v245, 4, v243
	v_lshlrev_b32_e32 v246, 11, v243
	;; [unrolled: 1-line block ×4, first 2 shown]
	v_and_b32_e32 v245, 16, v245
	v_and_b32_e32 v246, 0x1000, v246
	;; [unrolled: 1-line block ×4, first 2 shown]
	v_or3_b32 v241, v243, v241, v247
	v_lshrrev_b32_e32 v243, 4, v244
	v_lshlrev_b32_e32 v244, 4, v242
	v_or3_b32 v241, v241, v245, v246
	v_lshlrev_b32_e32 v245, 11, v242
	v_lshlrev_b32_e32 v246, 18, v242
	v_lshlrev_b32_e32 v242, 25, v242
	v_and_b32_e32 v244, 16, v244
	v_and_b32_e32 v243, 0xf0f0f0f, v243
	;; [unrolled: 1-line block ×5, first 2 shown]
	v_or3_b32 v242, v246, v242, v244
	v_or3_b32 v242, v242, v245, v243
	global_load_dwordx2 v[243:244], v[24:25], off offset:72
	global_load_dword v245, v[22:23], off offset:80
	s_waitcnt vmcnt(1)
	v_ashrrev_i32_e32 v24, v79, v244
	s_waitcnt vmcnt(0)
	v_and_b32_e32 v246, 0xf0f0f0f, v245
	v_lshlrev_b32_e32 v25, 4, v24
	v_lshlrev_b32_e32 v247, 11, v24
	;; [unrolled: 1-line block ×4, first 2 shown]
	v_and_b32_e32 v25, 16, v25
	v_and_b32_e32 v247, 0x1000, v247
	;; [unrolled: 1-line block ×4, first 2 shown]
	v_or3_b32 v24, v24, v246, v248
	global_load_dword v246, v[22:23], off offset:88
	v_ashrrev_i32_e32 v23, v230, v244
	v_or3_b32 v25, v24, v25, v247
	v_cvt_f32_f16_e32 v24, v243
	v_lshlrev_b32_e32 v247, 4, v23
	v_lshlrev_b32_e32 v248, 11, v23
	;; [unrolled: 1-line block ×4, first 2 shown]
	v_cvt_f32_f16_sdwa v243, v243 dst_sel:DWORD dst_unused:UNUSED_PAD src0_sel:WORD_1
	v_and_b32_e32 v247, 16, v247
	v_and_b32_e32 v248, 0x1000, v248
	;; [unrolled: 1-line block ×4, first 2 shown]
	v_or3_b32 v23, v249, v23, v247
	s_waitcnt vmcnt(0)
	v_and_b32_e32 v22, 0xf0f0f0f, v246
	v_or3_b32 v22, v23, v248, v22
	v_lshrrev_b32_e32 v23, 4, v245
	v_ashrrev_i32_e32 v245, v231, v244
	v_ashrrev_i32_e32 v244, v232, v244
	v_and_b32_e32 v23, 0xf0f0f0f, v23
	v_lshlrev_b32_e32 v247, 4, v245
	v_lshlrev_b32_e32 v248, 11, v245
	;; [unrolled: 1-line block ×4, first 2 shown]
	v_and_b32_e32 v247, 16, v247
	v_and_b32_e32 v248, 0x1000, v248
	v_and_b32_e32 v249, 0x100000, v249
	v_and_b32_e32 v245, 0x10000000, v245
	v_or3_b32 v23, v245, v23, v249
	v_lshrrev_b32_e32 v245, 4, v246
	v_lshlrev_b32_e32 v246, 4, v244
	v_or3_b32 v23, v23, v247, v248
	v_lshlrev_b32_e32 v247, 11, v244
	v_lshlrev_b32_e32 v248, 18, v244
	;; [unrolled: 1-line block ×3, first 2 shown]
	v_and_b32_e32 v246, 16, v246
	v_and_b32_e32 v245, 0xf0f0f0f, v245
	;; [unrolled: 1-line block ×5, first 2 shown]
	v_or3_b32 v244, v248, v244, v246
	v_mov_b32_e32 v248, 0
	v_mul_f32_e32 v246, v2, v34
	v_or3_b32 v244, v244, v247, v245
	v_mov_b32_e32 v245, 0
	v_mul_f32_e32 v247, v3, v33
	v_dot4c_i32_i8 v248, v31, v39
	v_dot4c_i32_i8 v245, v30, v38
	v_mul_f32_e32 v247, 0x3e000000, v247
	v_cvt_f32_i32_e32 v248, v248
	v_cvt_f32_i32_e32 v245, v245
	v_fma_f32 v248, v246, v248, v247
	v_fma_f32 v245, v246, v245, v247
	v_add_f32_e32 v245, 0, v245
	v_add_f32_e32 v245, v245, v248
	v_mov_b32_e32 v248, 0
	v_dot4c_i32_i8 v248, v32, v40
	v_cvt_f32_i32_e32 v248, v248
	v_fma_f32 v248, v246, v248, v247
	v_add_f32_e32 v245, v248, v245
	v_mov_b32_e32 v248, 0
	v_dot4c_i32_i8 v248, v35, v41
	v_cvt_f32_i32_e32 v248, v248
	v_fmac_f32_e32 v247, v246, v248
	v_mov_b32_e32 v246, 0
	v_mul_f32_e32 v248, v5, v235
	v_add_f32_e32 v245, v245, v247
	v_dot4c_i32_i8 v246, v36, v42
	v_mul_f32_e32 v247, v4, v236
	v_mul_f32_e32 v248, 0x3e000000, v248
	v_cvt_f32_i32_e32 v246, v246
	v_fma_f32 v246, v247, v246, v248
	v_add_f32_e32 v245, v245, v246
	v_mov_b32_e32 v246, 0
	v_dot4c_i32_i8 v246, v37, v43
	v_cvt_f32_i32_e32 v246, v246
	v_fma_f32 v246, v247, v246, v248
	v_add_f32_e32 v245, v245, v246
	v_mov_b32_e32 v246, 0
	v_dot4c_i32_i8 v246, v70, v44
	;; [unrolled: 5-line block ×3, first 2 shown]
	v_cvt_f32_i32_e32 v246, v246
	v_fmac_f32_e32 v248, v247, v246
	v_mov_b32_e32 v246, 0
	v_mul_f32_e32 v247, v6, v240
	v_add_f32_e32 v245, v245, v248
	v_dot4c_i32_i8 v246, v237, v46
	v_mul_f32_e32 v248, v7, v239
	v_cvt_f32_i32_e32 v246, v246
	v_mul_f32_e32 v248, 0x3e000000, v248
	v_fma_f32 v246, v247, v246, v248
	v_add_f32_e32 v245, v245, v246
	v_mov_b32_e32 v246, 0
	v_dot4c_i32_i8 v246, v238, v47
	v_cvt_f32_i32_e32 v246, v246
	v_fma_f32 v246, v247, v246, v248
	v_add_f32_e32 v245, v245, v246
	v_mov_b32_e32 v246, 0
	v_dot4c_i32_i8 v246, v241, v48
	v_cvt_f32_i32_e32 v246, v246
	;; [unrolled: 5-line block ×3, first 2 shown]
	v_fmac_f32_e32 v248, v247, v246
	v_mov_b32_e32 v246, 0
	v_mul_f32_e32 v247, v8, v24
	v_add_f32_e32 v245, v245, v248
	v_dot4c_i32_i8 v246, v25, v50
	v_mul_f32_e32 v248, v9, v243
	v_cvt_f32_i32_e32 v246, v246
	v_mul_f32_e32 v248, 0x3e000000, v248
	v_fma_f32 v246, v247, v246, v248
	v_add_f32_e32 v245, v245, v246
	v_mov_b32_e32 v246, 0
	v_dot4c_i32_i8 v246, v22, v51
	v_cvt_f32_i32_e32 v246, v246
	v_fma_f32 v246, v247, v246, v248
	v_add_f32_e32 v245, v245, v246
	v_mov_b32_e32 v246, 0
	v_dot4c_i32_i8 v246, v23, v52
	v_cvt_f32_i32_e32 v246, v246
	;; [unrolled: 5-line block ×3, first 2 shown]
	v_fmac_f32_e32 v248, v247, v246
	v_add_f32_e32 v245, v245, v248
	ds_bpermute_b32 v246, v84, v245
	s_waitcnt lgkmcnt(0)
	v_add_f32_e32 v245, v245, v246
                                        ; implicit-def: $vgpr246
	v_cmp_ngt_f32_e64 s12, 0x3f200000, |v245|
	s_and_saveexec_b32 s14, s12
	s_xor_b32 s12, exec_lo, s14
	s_cbranch_execz .LBB22_31
; %bb.30:                               ;   in Loop: Header=BB22_17 Depth=1
	v_add_f32_e64 v246, |v245|, |v245|
	v_mul_f32_e32 v247, 0x3fb8aa3b, v246
	v_cmp_ngt_f32_e32 vcc_lo, 0xc2ce8ed0, v246
	v_rndne_f32_e32 v248, v247
	v_fma_f32 v249, 0x3fb8aa3b, v246, -v247
	v_sub_f32_e32 v247, v247, v248
	v_fmac_f32_e32 v249, 0x32a5705f, v246
	v_cvt_i32_f32_e32 v248, v248
	v_add_f32_e32 v247, v247, v249
	v_exp_f32_e32 v247, v247
	v_ldexp_f32 v247, v247, v248
	v_cndmask_b32_e32 v247, 0, v247, vcc_lo
	v_cmp_nlt_f32_e32 vcc_lo, 0x42b17218, v246
	v_cndmask_b32_e32 v246, 0x7f800000, v247, vcc_lo
	v_add_f32_e32 v246, 1.0, v246
	v_rcp_f32_e32 v246, v246
	v_fma_f32 v246, v246, -2.0, 1.0
.LBB22_31:                              ;   in Loop: Header=BB22_17 Depth=1
	s_andn2_saveexec_b32 s12, s12
	s_cbranch_execz .LBB22_33
; %bb.32:                               ;   in Loop: Header=BB22_17 Depth=1
	v_mul_f32_e32 v246, v245, v245
	v_fmaak_f32 v247, s10, v246, 0x3ca908c9
	v_fmaak_f32 v247, v246, v247, 0xbd5c1c4e
	;; [unrolled: 1-line block ×4, first 2 shown]
	v_mul_f32_e64 v247, |v245|, v247
	v_fma_f32 v246, v246, v247, |v245|
.LBB22_33:                              ;   in Loop: Header=BB22_17 Depth=1
	s_or_b32 exec_lo, exec_lo, s12
	v_bfi_b32 v245, 0x7fffffff, v246, v245
	s_andn2_b32 vcc_lo, exec_lo, s35
	v_mul_f32_e32 v245, s41, v245
	s_cbranch_vccnz .LBB22_35
; %bb.34:                               ;   in Loop: Header=BB22_17 Depth=1
	v_add_co_u32 v246, vcc_lo, v92, s11
	v_add_co_ci_u32_e64 v247, null, s13, v93, vcc_lo
	global_load_ushort v246, v[246:247], off
	s_waitcnt vmcnt(0)
	v_fma_mix_f32 v245, v77, v246, v245 op_sel_hi:[0,1,0]
.LBB22_35:                              ;   in Loop: Header=BB22_17 Depth=1
	v_mov_b32_e32 v246, 0
	v_mul_f32_e32 v33, v11, v33
	v_mov_b32_e32 v247, 0
	v_mul_f32_e32 v34, v10, v34
	v_mov_b32_e32 v248, 0
	v_dot4c_i32_i8 v246, v30, v54
	v_mul_f32_e32 v33, 0x3e000000, v33
	v_dot4c_i32_i8 v247, v31, v55
	v_mov_b32_e32 v30, 0
	v_dot4c_i32_i8 v248, v32, v56
	v_cvt_f32_i32_e32 v31, v246
	v_mov_b32_e32 v249, 0
	v_cvt_f32_i32_e32 v32, v247
	v_dot4c_i32_i8 v30, v35, v57
	v_cvt_f32_i32_e32 v35, v248
	v_fma_f32 v31, v34, v31, v33
	v_mul_f32_e32 v235, v13, v235
	v_fma_f32 v32, v34, v32, v33
	v_mov_b32_e32 v246, 0
	v_dot4c_i32_i8 v249, v36, v58
	v_add_f32_e32 v31, 0, v31
	v_cvt_f32_i32_e32 v30, v30
	v_fma_f32 v35, v34, v35, v33
	v_mul_f32_e32 v236, v12, v236
	v_mov_b32_e32 v247, 0
	v_add_f32_e32 v31, v31, v32
	v_mul_f32_e32 v32, 0x3e000000, v235
	v_dot4c_i32_i8 v246, v37, v59
	v_cvt_f32_i32_e32 v36, v249
	v_fmac_f32_e32 v33, v34, v30
	v_add_f32_e32 v30, v35, v31
	v_mov_b32_e32 v31, 0
	v_dot4c_i32_i8 v247, v70, v60
	v_cvt_f32_i32_e32 v34, v246
	v_fma_f32 v35, v236, v36, v32
	v_add_f32_e32 v30, v30, v33
	v_mov_b32_e32 v33, 0
	v_dot4c_i32_i8 v31, v71, v61
	v_cvt_f32_i32_e32 v36, v247
	v_fma_f32 v34, v236, v34, v32
	v_add_f32_e32 v30, v30, v35
	v_mul_f32_e32 v37, v15, v239
	v_cvt_f32_i32_e32 v31, v31
	v_fma_f32 v36, v236, v36, v32
	v_dot4c_i32_i8 v33, v237, v62
	v_add_f32_e32 v30, v30, v34
	v_mov_b32_e32 v34, 0
	v_mul_f32_e32 v35, v14, v240
	v_mov_b32_e32 v70, 0
	v_fmac_f32_e32 v32, v236, v31
	v_add_f32_e32 v30, v36, v30
	v_cvt_f32_i32_e32 v31, v33
	v_mul_f32_e32 v33, 0x3e000000, v37
	v_dot4c_i32_i8 v34, v238, v63
	v_dot4c_i32_i8 v70, v241, v64
	v_add_f32_e32 v30, v30, v32
	v_mul_f32_e32 v24, v16, v24
	v_fma_f32 v31, v35, v31, v33
	v_cvt_f32_i32_e32 v32, v34
	v_mov_b32_e32 v34, 0
	v_cvt_f32_i32_e32 v36, v70
	v_add_f32_e32 v30, v30, v31
	v_fma_f32 v31, v35, v32, v33
	v_dot4c_i32_i8 v34, v242, v65
	v_mov_b32_e32 v32, 0
	v_fma_f32 v36, v35, v36, v33
	v_add_f32_e32 v30, v30, v31
	v_cvt_f32_i32_e32 v31, v34
	v_mul_f32_e32 v34, v17, v243
	v_dot4c_i32_i8 v32, v25, v66
	v_mov_b32_e32 v25, 0
	v_add_f32_e32 v30, v36, v30
	v_fmac_f32_e32 v33, v35, v31
	v_cvt_f32_i32_e32 v31, v32
	v_mul_f32_e32 v32, 0x3e000000, v34
	v_dot4c_i32_i8 v25, v22, v67
	v_mov_b32_e32 v22, 0
	v_add_f32_e32 v30, v30, v33
	v_fma_f32 v31, v24, v31, v32
	v_cvt_f32_i32_e32 v25, v25
	v_dot4c_i32_i8 v22, v23, v68
	v_mov_b32_e32 v23, 0
	v_add_f32_e32 v30, v30, v31
	v_fma_f32 v25, v24, v25, v32
	v_cvt_f32_i32_e32 v22, v22
	v_dot4c_i32_i8 v23, v244, v69
	v_add_f32_e32 v25, v30, v25
	v_fma_f32 v22, v24, v22, v32
	v_cvt_f32_i32_e32 v23, v23
	v_add_f32_e32 v22, v22, v25
	v_fmac_f32_e32 v32, v24, v23
	v_add_f32_e32 v22, v22, v32
	ds_bpermute_b32 v23, v84, v22
	s_waitcnt lgkmcnt(0)
	v_add_f32_e32 v22, v22, v23
                                        ; implicit-def: $vgpr23
	v_cmp_ngt_f32_e64 s12, 0x3f200000, |v22|
	s_and_saveexec_b32 s14, s12
	s_xor_b32 s12, exec_lo, s14
	s_cbranch_execz .LBB22_37
; %bb.36:                               ;   in Loop: Header=BB22_17 Depth=1
	v_add_f32_e64 v23, |v22|, |v22|
	v_mul_f32_e32 v24, 0x3fb8aa3b, v23
	v_cmp_ngt_f32_e32 vcc_lo, 0xc2ce8ed0, v23
	v_rndne_f32_e32 v25, v24
	v_fma_f32 v30, 0x3fb8aa3b, v23, -v24
	v_sub_f32_e32 v24, v24, v25
	v_fmac_f32_e32 v30, 0x32a5705f, v23
	v_cvt_i32_f32_e32 v25, v25
	v_add_f32_e32 v24, v24, v30
	v_exp_f32_e32 v24, v24
	v_ldexp_f32 v24, v24, v25
	v_cndmask_b32_e32 v24, 0, v24, vcc_lo
	v_cmp_nlt_f32_e32 vcc_lo, 0x42b17218, v23
	v_cndmask_b32_e32 v23, 0x7f800000, v24, vcc_lo
	v_add_f32_e32 v23, 1.0, v23
	v_rcp_f32_e32 v23, v23
	v_fma_f32 v23, v23, -2.0, 1.0
.LBB22_37:                              ;   in Loop: Header=BB22_17 Depth=1
	s_andn2_saveexec_b32 s12, s12
	s_cbranch_execz .LBB22_39
; %bb.38:                               ;   in Loop: Header=BB22_17 Depth=1
	v_mul_f32_e32 v23, v22, v22
	v_fmaak_f32 v24, s10, v23, 0x3ca908c9
	v_fmaak_f32 v24, v23, v24, 0xbd5c1c4e
	;; [unrolled: 1-line block ×4, first 2 shown]
	v_mul_f32_e64 v24, |v22|, v24
	v_fma_f32 v23, v23, v24, |v22|
.LBB22_39:                              ;   in Loop: Header=BB22_17 Depth=1
	s_or_b32 exec_lo, exec_lo, s12
	v_bfi_b32 v22, 0x7fffffff, v23, v22
	s_andn2_b32 vcc_lo, exec_lo, s39
	v_mul_f32_e32 v22, s41, v22
	s_cbranch_vccnz .LBB22_41
; %bb.40:                               ;   in Loop: Header=BB22_17 Depth=1
	v_add_co_u32 v23, vcc_lo, v94, s11
	v_add_co_ci_u32_e64 v24, null, s13, v95, vcc_lo
	global_load_ushort v23, v[23:24], off
	s_waitcnt vmcnt(0)
	v_fma_mix_f32 v22, v77, v23, v22 op_sel_hi:[0,1,0]
.LBB22_41:                              ;   in Loop: Header=BB22_17 Depth=1
	v_add_f32_e32 v24, 0x40051340, v28
	v_add_f32_e32 v25, 0x40051340, v245
	v_cndmask_b32_e64 v23, v234, v28, s1
	v_add_f32_e32 v28, 0x40051340, v22
	v_cndmask_b32_e64 v22, v22, v29, s1
	s_add_i32 s2, s2, s4
	v_max3_f32 v24, v27, v24, v25
	v_add_f32_e32 v25, 0x40051340, v29
	v_cndmask_b32_e64 v23, v245, v23, s1
	s_cmp_ge_i32 s2, s31
	v_max3_f32 v25, v26, v25, v28
	ds_bpermute_b32 v28, v85, v24
	s_waitcnt lgkmcnt(0)
	v_max_f32_e32 v28, v28, v28
	v_max_f32_e32 v24, v24, v28
	ds_bpermute_b32 v28, v86, v24
	s_waitcnt lgkmcnt(0)
	v_max_f32_e32 v28, v28, v28
	v_max_f32_e32 v24, v24, v28
	;; [unrolled: 4-line block ×4, first 2 shown]
	v_sub_f32_e32 v24, v27, v70
	v_sub_f32_e32 v23, v23, v70
	v_mul_f32_e32 v27, 0x3fb8aa3b, v24
	v_cmp_ngt_f32_e32 vcc_lo, 0xc2ce8ed0, v24
	v_fma_f32 v28, 0x3fb8aa3b, v24, -v27
	v_rndne_f32_e32 v29, v27
	v_fmac_f32_e32 v28, 0x32a5705f, v24
	v_sub_f32_e32 v27, v27, v29
	v_add_f32_e32 v27, v27, v28
	v_cvt_i32_f32_e32 v28, v29
	v_exp_f32_e32 v27, v27
	v_ldexp_f32 v27, v27, v28
	v_cndmask_b32_e32 v27, 0, v27, vcc_lo
	v_cmp_nlt_f32_e32 vcc_lo, 0x42b17218, v24
	v_cndmask_b32_e32 v24, 0x7f800000, v27, vcc_lo
	v_mul_f32_e32 v27, 0x3fb8aa3b, v23
	v_cmp_ngt_f32_e32 vcc_lo, 0xc2ce8ed0, v23
	v_fma_f32 v28, 0x3fb8aa3b, v23, -v27
	v_rndne_f32_e32 v29, v27
	v_fmac_f32_e32 v28, 0x32a5705f, v23
	v_sub_f32_e32 v27, v27, v29
	v_add_f32_e32 v27, v27, v28
	v_cvt_i32_f32_e32 v28, v29
	v_exp_f32_e32 v27, v27
	v_ldexp_f32 v27, v27, v28
	v_cndmask_b32_e32 v27, 0, v27, vcc_lo
	v_cmp_nlt_f32_e32 vcc_lo, 0x42b17218, v23
	v_cndmask_b32_e32 v234, 0x7f800000, v27, vcc_lo
	v_cvt_f16_f32_e32 v23, v234
	v_fma_f32 v83, v83, v24, v234
	ds_write_b16 v75, v23
	v_cvt_f16_f32_e32 v23, v24
	v_mul_u32_u24_sdwa v23, v23, v233 dst_sel:DWORD dst_unused:UNUSED_PAD src0_sel:WORD_0 src1_sel:DWORD
	v_pk_mul_f16 v239, v18, v23
	ds_bpermute_b32 v18, v85, v25
	v_pk_mul_f16 v240, v19, v23
	s_waitcnt lgkmcnt(0)
	v_max_f32_e32 v18, v18, v18
	v_max_f32_e32 v18, v25, v18
	ds_bpermute_b32 v19, v86, v18
	s_waitcnt lgkmcnt(0)
	v_max_f32_e32 v19, v19, v19
	v_max_f32_e32 v18, v18, v19
	ds_bpermute_b32 v19, v87, v18
	s_waitcnt lgkmcnt(0)
	v_max_f32_e32 v19, v19, v19
	v_max_f32_e32 v18, v18, v19
	ds_bpermute_b32 v19, v88, v18
	s_waitcnt lgkmcnt(0)
	v_max_f32_e32 v19, v19, v19
	v_max_f32_e32 v71, v18, v19
	v_sub_f32_e32 v18, v26, v71
	v_mul_f32_e32 v19, 0x3fb8aa3b, v18
	v_cmp_ngt_f32_e32 vcc_lo, 0xc2ce8ed0, v18
	v_fma_f32 v23, 0x3fb8aa3b, v18, -v19
	v_rndne_f32_e32 v24, v19
	v_fmac_f32_e32 v23, 0x32a5705f, v18
	v_sub_f32_e32 v19, v19, v24
	v_add_f32_e32 v19, v19, v23
	v_cvt_i32_f32_e32 v23, v24
	v_exp_f32_e32 v19, v19
	v_ldexp_f32 v19, v19, v23
	v_cndmask_b32_e32 v19, 0, v19, vcc_lo
	v_cmp_nlt_f32_e32 vcc_lo, 0x42b17218, v18
	v_cndmask_b32_e32 v18, 0x7f800000, v19, vcc_lo
	v_sub_f32_e32 v19, v22, v71
	v_mul_f32_e32 v22, 0x3fb8aa3b, v19
	v_cmp_ngt_f32_e32 vcc_lo, 0xc2ce8ed0, v19
	v_fma_f32 v23, 0x3fb8aa3b, v19, -v22
	v_rndne_f32_e32 v24, v22
	v_fmac_f32_e32 v23, 0x32a5705f, v19
	v_sub_f32_e32 v22, v22, v24
	v_add_f32_e32 v22, v22, v23
	v_cvt_i32_f32_e32 v23, v24
	v_exp_f32_e32 v22, v22
	v_ldexp_f32 v22, v22, v23
	v_cndmask_b32_e32 v22, 0, v22, vcc_lo
	v_cmp_nlt_f32_e32 vcc_lo, 0x42b17218, v19
	v_cndmask_b32_e32 v19, 0x7f800000, v22, vcc_lo
	v_add_co_u32 v235, vcc_lo, v96, s28
	v_add_co_ci_u32_e64 v236, null, 0, v97, vcc_lo
	v_fma_f32 v82, v82, v18, v19
	v_cvt_f16_f32_e32 v18, v18
	v_add_co_u32 v237, vcc_lo, v98, s28
	v_cvt_f16_f32_e32 v19, v19
	v_add_co_ci_u32_e64 v238, null, 0, v99, vcc_lo
	v_mul_u32_u24_sdwa v18, v18, v233 dst_sel:DWORD dst_unused:UNUSED_PAD src0_sel:WORD_0 src1_sel:DWORD
	ds_write_b16 v75, v19 offset:256
	v_pk_mul_f16 v241, v20, v18
	v_pk_mul_f16 v242, v21, v18
	ds_read_b128 v[30:33], v89
	ds_read_b128 v[26:29], v89 offset:16
	ds_read_b128 v[22:25], v89 offset:32
	;; [unrolled: 1-line block ×3, first 2 shown]
	global_load_ushort v235, v[235:236], off
	global_load_dword v236, v[237:238], off offset:2
	ds_read_b128 v[34:37], v89 offset:256
	s_waitcnt lgkmcnt(4)
	v_mul_u32_u24_sdwa v243, v30, v233 dst_sel:DWORD dst_unused:UNUSED_PAD src0_sel:WORD_0 src1_sel:DWORD
	v_mul_u32_u24_sdwa v30, v30, v233 dst_sel:DWORD dst_unused:UNUSED_PAD src0_sel:WORD_1 src1_sel:DWORD
	s_waitcnt lgkmcnt(0)
	v_mul_u32_u24_sdwa v244, v34, v233 dst_sel:DWORD dst_unused:UNUSED_PAD src0_sel:WORD_0 src1_sel:DWORD
	v_mul_u32_u24_sdwa v34, v34, v233 dst_sel:DWORD dst_unused:UNUSED_PAD src0_sel:WORD_1 src1_sel:DWORD
	s_waitcnt vmcnt(1)
	v_mul_u32_u24_e32 v235, 0x10001, v235
	s_waitcnt vmcnt(0)
	v_pk_lshrrev_b16 v237, 8, v236 op_sel:[1,0] op_sel_hi:[0,0]
	v_pk_lshrrev_b16 v236, 8, v236 op_sel:[1,1] op_sel_hi:[0,1]
	v_lshrrev_b32_e32 v238, 16, v237
	v_cvt_f16_i16_sdwa v237, sext(v237) dst_sel:DWORD dst_unused:UNUSED_PAD src0_sel:BYTE_0
	v_cvt_f16_i16_sdwa v238, sext(v238) dst_sel:DWORD dst_unused:UNUSED_PAD src0_sel:BYTE_0
	v_pack_b32_f16 v237, v237, v238
	v_lshrrev_b32_e32 v238, 16, v236
	v_cvt_f16_i16_sdwa v236, sext(v236) dst_sel:DWORD dst_unused:UNUSED_PAD src0_sel:BYTE_0
	v_pk_mul_f16 v237, v237, v235
	v_cvt_f16_i16_sdwa v238, sext(v238) dst_sel:DWORD dst_unused:UNUSED_PAD src0_sel:BYTE_0
	v_pk_fma_f16 v239, v237, v243, v239
	v_pack_b32_f16 v236, v236, v238
	v_pk_fma_f16 v241, v237, v244, v241
	v_pk_mul_f16 v235, v236, v235
	v_pk_fma_f16 v240, v235, v243, v240
	v_pk_fma_f16 v242, v235, v244, v242
	v_add_co_u32 v235, vcc_lo, v104, s28
	v_add_co_ci_u32_e64 v236, null, 0, v105, vcc_lo
	v_add_co_u32 v237, vcc_lo, v106, s28
	v_add_co_ci_u32_e64 v238, null, 0, v107, vcc_lo
	global_load_ushort v235, v[235:236], off
	global_load_dword v236, v[237:238], off offset:2
	s_waitcnt vmcnt(1)
	v_mul_u32_u24_e32 v235, 0x10001, v235
	s_waitcnt vmcnt(0)
	v_pk_lshrrev_b16 v237, 8, v236 op_sel:[1,0] op_sel_hi:[0,0]
	v_pk_lshrrev_b16 v236, 8, v236 op_sel:[1,1] op_sel_hi:[0,1]
	v_lshrrev_b32_e32 v238, 16, v237
	v_cvt_f16_i16_sdwa v237, sext(v237) dst_sel:DWORD dst_unused:UNUSED_PAD src0_sel:BYTE_0
	v_cvt_f16_i16_sdwa v238, sext(v238) dst_sel:DWORD dst_unused:UNUSED_PAD src0_sel:BYTE_0
	v_pack_b32_f16 v237, v237, v238
	v_lshrrev_b32_e32 v238, 16, v236
	v_cvt_f16_i16_sdwa v236, sext(v236) dst_sel:DWORD dst_unused:UNUSED_PAD src0_sel:BYTE_0
	v_pk_mul_f16 v237, v237, v235
	v_cvt_f16_i16_sdwa v238, sext(v238) dst_sel:DWORD dst_unused:UNUSED_PAD src0_sel:BYTE_0
	v_pk_fma_f16 v239, v237, v30, v239
	v_pack_b32_f16 v236, v236, v238
	v_pk_fma_f16 v241, v237, v34, v241
	v_pk_mul_f16 v235, v236, v235
	v_pk_fma_f16 v30, v235, v30, v240
	v_pk_fma_f16 v34, v235, v34, v242
	v_add_co_u32 v235, vcc_lo, v108, s28
	v_add_co_ci_u32_e64 v236, null, 0, v109, vcc_lo
	v_add_co_u32 v237, vcc_lo, v110, s28
	v_add_co_ci_u32_e64 v238, null, 0, v111, vcc_lo
	global_load_ushort v235, v[235:236], off
	v_mul_u32_u24_sdwa v240, v31, v233 dst_sel:DWORD dst_unused:UNUSED_PAD src0_sel:WORD_0 src1_sel:DWORD
	v_mul_u32_u24_sdwa v242, v35, v233 dst_sel:DWORD dst_unused:UNUSED_PAD src0_sel:WORD_0 src1_sel:DWORD
	global_load_dword v236, v[237:238], off offset:2
	s_waitcnt vmcnt(1)
	v_mul_u32_u24_e32 v235, 0x10001, v235
	s_waitcnt vmcnt(0)
	v_pk_lshrrev_b16 v237, 8, v236 op_sel:[1,0] op_sel_hi:[0,0]
	v_pk_lshrrev_b16 v236, 8, v236 op_sel:[1,1] op_sel_hi:[0,1]
	v_lshrrev_b32_e32 v238, 16, v237
	v_cvt_f16_i16_sdwa v237, sext(v237) dst_sel:DWORD dst_unused:UNUSED_PAD src0_sel:BYTE_0
	v_cvt_f16_i16_sdwa v238, sext(v238) dst_sel:DWORD dst_unused:UNUSED_PAD src0_sel:BYTE_0
	v_pack_b32_f16 v237, v237, v238
	v_lshrrev_b32_e32 v238, 16, v236
	v_cvt_f16_i16_sdwa v236, sext(v236) dst_sel:DWORD dst_unused:UNUSED_PAD src0_sel:BYTE_0
	v_pk_mul_f16 v237, v237, v235
	v_cvt_f16_i16_sdwa v238, sext(v238) dst_sel:DWORD dst_unused:UNUSED_PAD src0_sel:BYTE_0
	v_pack_b32_f16 v236, v236, v238
	v_pk_mul_f16 v235, v236, v235
	v_pk_fma_f16 v236, v237, v240, v239
	v_mul_u32_u24_sdwa v239, v31, v233 dst_sel:DWORD dst_unused:UNUSED_PAD src0_sel:WORD_1 src1_sel:DWORD
	v_pk_fma_f16 v237, v237, v242, v241
	v_pk_fma_f16 v238, v235, v240, v30
	v_add_co_u32 v30, vcc_lo, v114, s28
	v_pk_fma_f16 v235, v235, v242, v34
	v_add_co_ci_u32_e64 v31, null, 0, v115, vcc_lo
	v_add_co_u32 v34, vcc_lo, v228, s28
	v_mul_u32_u24_sdwa v240, v35, v233 dst_sel:DWORD dst_unused:UNUSED_PAD src0_sel:WORD_1 src1_sel:DWORD
	v_add_co_ci_u32_e64 v35, null, 0, v229, vcc_lo
	global_load_ushort v30, v[30:31], off
	global_load_dword v31, v[34:35], off offset:2
	s_waitcnt vmcnt(1)
	v_mul_u32_u24_e32 v30, 0x10001, v30
	s_waitcnt vmcnt(0)
	v_pk_lshrrev_b16 v34, 8, v31 op_sel:[1,0] op_sel_hi:[0,0]
	v_pk_lshrrev_b16 v31, 8, v31 op_sel:[1,1] op_sel_hi:[0,1]
	v_lshrrev_b32_e32 v35, 16, v34
	v_cvt_f16_i16_sdwa v34, sext(v34) dst_sel:DWORD dst_unused:UNUSED_PAD src0_sel:BYTE_0
	v_cvt_f16_i16_sdwa v35, sext(v35) dst_sel:DWORD dst_unused:UNUSED_PAD src0_sel:BYTE_0
	v_pack_b32_f16 v34, v34, v35
	v_lshrrev_b32_e32 v35, 16, v31
	v_cvt_f16_i16_sdwa v31, sext(v31) dst_sel:DWORD dst_unused:UNUSED_PAD src0_sel:BYTE_0
	v_pk_mul_f16 v34, v34, v30
	v_cvt_f16_i16_sdwa v35, sext(v35) dst_sel:DWORD dst_unused:UNUSED_PAD src0_sel:BYTE_0
	v_pk_fma_f16 v236, v34, v239, v236
	v_pack_b32_f16 v31, v31, v35
	v_pk_fma_f16 v237, v34, v240, v237
	v_pk_mul_f16 v30, v31, v30
	v_pk_fma_f16 v238, v30, v239, v238
	v_pk_fma_f16 v235, v30, v240, v235
	v_add_co_u32 v30, vcc_lo, v226, s28
	v_add_co_ci_u32_e64 v31, null, 0, v227, vcc_lo
	v_add_co_u32 v34, vcc_lo, v224, s28
	v_add_co_ci_u32_e64 v35, null, 0, v225, vcc_lo
	global_load_ushort v30, v[30:31], off
	v_mul_u32_u24_sdwa v239, v32, v233 dst_sel:DWORD dst_unused:UNUSED_PAD src0_sel:WORD_0 src1_sel:DWORD
	v_mul_u32_u24_sdwa v240, v36, v233 dst_sel:DWORD dst_unused:UNUSED_PAD src0_sel:WORD_0 src1_sel:DWORD
	global_load_dword v31, v[34:35], off offset:2
	v_mul_u32_u24_sdwa v32, v32, v233 dst_sel:DWORD dst_unused:UNUSED_PAD src0_sel:WORD_1 src1_sel:DWORD
	v_mul_u32_u24_sdwa v36, v36, v233 dst_sel:DWORD dst_unused:UNUSED_PAD src0_sel:WORD_1 src1_sel:DWORD
	s_waitcnt vmcnt(1)
	v_mul_u32_u24_e32 v30, 0x10001, v30
	s_waitcnt vmcnt(0)
	v_pk_lshrrev_b16 v34, 8, v31 op_sel:[1,0] op_sel_hi:[0,0]
	v_pk_lshrrev_b16 v31, 8, v31 op_sel:[1,1] op_sel_hi:[0,1]
	v_lshrrev_b32_e32 v35, 16, v34
	v_cvt_f16_i16_sdwa v34, sext(v34) dst_sel:DWORD dst_unused:UNUSED_PAD src0_sel:BYTE_0
	v_cvt_f16_i16_sdwa v35, sext(v35) dst_sel:DWORD dst_unused:UNUSED_PAD src0_sel:BYTE_0
	v_pack_b32_f16 v34, v34, v35
	v_lshrrev_b32_e32 v35, 16, v31
	v_cvt_f16_i16_sdwa v31, sext(v31) dst_sel:DWORD dst_unused:UNUSED_PAD src0_sel:BYTE_0
	v_pk_mul_f16 v34, v34, v30
	v_cvt_f16_i16_sdwa v35, sext(v35) dst_sel:DWORD dst_unused:UNUSED_PAD src0_sel:BYTE_0
	v_pk_fma_f16 v236, v34, v239, v236
	v_pack_b32_f16 v31, v31, v35
	v_pk_fma_f16 v237, v34, v240, v237
	v_pk_mul_f16 v30, v31, v30
	v_pk_fma_f16 v238, v30, v239, v238
	v_pk_fma_f16 v235, v30, v240, v235
	v_add_co_u32 v30, vcc_lo, v222, s28
	v_add_co_ci_u32_e64 v31, null, 0, v223, vcc_lo
	v_add_co_u32 v34, vcc_lo, v220, s28
	v_add_co_ci_u32_e64 v35, null, 0, v221, vcc_lo
	global_load_ushort v30, v[30:31], off
	v_mul_u32_u24_sdwa v239, v26, v233 dst_sel:DWORD dst_unused:UNUSED_PAD src0_sel:WORD_0 src1_sel:DWORD
	v_mul_u32_u24_sdwa v26, v26, v233 dst_sel:DWORD dst_unused:UNUSED_PAD src0_sel:WORD_1 src1_sel:DWORD
	global_load_dword v31, v[34:35], off offset:2
	s_waitcnt vmcnt(1)
	v_mul_u32_u24_e32 v30, 0x10001, v30
	s_waitcnt vmcnt(0)
	v_pk_lshrrev_b16 v34, 8, v31 op_sel:[1,0] op_sel_hi:[0,0]
	v_pk_lshrrev_b16 v31, 8, v31 op_sel:[1,1] op_sel_hi:[0,1]
	v_lshrrev_b32_e32 v35, 16, v34
	v_cvt_f16_i16_sdwa v34, sext(v34) dst_sel:DWORD dst_unused:UNUSED_PAD src0_sel:BYTE_0
	v_cvt_f16_i16_sdwa v35, sext(v35) dst_sel:DWORD dst_unused:UNUSED_PAD src0_sel:BYTE_0
	v_pack_b32_f16 v34, v34, v35
	v_lshrrev_b32_e32 v35, 16, v31
	v_cvt_f16_i16_sdwa v31, sext(v31) dst_sel:DWORD dst_unused:UNUSED_PAD src0_sel:BYTE_0
	v_pk_mul_f16 v34, v34, v30
	v_cvt_f16_i16_sdwa v35, sext(v35) dst_sel:DWORD dst_unused:UNUSED_PAD src0_sel:BYTE_0
	v_pk_fma_f16 v236, v34, v32, v236
	v_pack_b32_f16 v31, v31, v35
	v_pk_fma_f16 v237, v34, v36, v237
	v_pk_mul_f16 v30, v31, v30
	v_pk_fma_f16 v32, v30, v32, v238
	v_pk_fma_f16 v36, v30, v36, v235
	v_add_co_u32 v30, vcc_lo, v218, s28
	v_add_co_ci_u32_e64 v31, null, 0, v219, vcc_lo
	v_add_co_u32 v34, vcc_lo, v216, s28
	v_add_co_ci_u32_e64 v35, null, 0, v217, vcc_lo
	global_load_ushort v30, v[30:31], off
	v_mul_u32_u24_sdwa v235, v33, v233 dst_sel:DWORD dst_unused:UNUSED_PAD src0_sel:WORD_0 src1_sel:DWORD
	v_mul_u32_u24_sdwa v238, v37, v233 dst_sel:DWORD dst_unused:UNUSED_PAD src0_sel:WORD_0 src1_sel:DWORD
	global_load_dword v31, v[34:35], off offset:2
	v_mul_u32_u24_sdwa v37, v37, v233 dst_sel:DWORD dst_unused:UNUSED_PAD src0_sel:WORD_1 src1_sel:DWORD
	s_waitcnt vmcnt(1)
	v_mul_u32_u24_e32 v30, 0x10001, v30
	s_waitcnt vmcnt(0)
	v_pk_lshrrev_b16 v34, 8, v31 op_sel:[1,0] op_sel_hi:[0,0]
	v_pk_lshrrev_b16 v31, 8, v31 op_sel:[1,1] op_sel_hi:[0,1]
	v_lshrrev_b32_e32 v35, 16, v34
	v_cvt_f16_i16_sdwa v34, sext(v34) dst_sel:DWORD dst_unused:UNUSED_PAD src0_sel:BYTE_0
	v_cvt_f16_i16_sdwa v35, sext(v35) dst_sel:DWORD dst_unused:UNUSED_PAD src0_sel:BYTE_0
	v_pack_b32_f16 v34, v34, v35
	v_lshrrev_b32_e32 v35, 16, v31
	v_cvt_f16_i16_sdwa v31, sext(v31) dst_sel:DWORD dst_unused:UNUSED_PAD src0_sel:BYTE_0
	v_pk_mul_f16 v34, v34, v30
	v_cvt_f16_i16_sdwa v35, sext(v35) dst_sel:DWORD dst_unused:UNUSED_PAD src0_sel:BYTE_0
	v_pack_b32_f16 v31, v31, v35
	v_pk_fma_f16 v35, v34, v235, v236
	v_mul_u32_u24_sdwa v236, v33, v233 dst_sel:DWORD dst_unused:UNUSED_PAD src0_sel:WORD_1 src1_sel:DWORD
	v_pk_fma_f16 v34, v34, v238, v237
	v_pk_mul_f16 v30, v31, v30
	v_pk_fma_f16 v235, v30, v235, v32
	v_pk_fma_f16 v36, v30, v238, v36
	v_add_co_u32 v30, vcc_lo, v214, s28
	v_add_co_ci_u32_e64 v31, null, 0, v215, vcc_lo
	v_add_co_u32 v32, vcc_lo, v212, s28
	v_add_co_ci_u32_e64 v33, null, 0, v213, vcc_lo
	global_load_ushort v30, v[30:31], off
	global_load_dword v31, v[32:33], off offset:2
	s_waitcnt vmcnt(1)
	v_mul_u32_u24_e32 v30, 0x10001, v30
	s_waitcnt vmcnt(0)
	v_pk_lshrrev_b16 v32, 8, v31 op_sel:[1,0] op_sel_hi:[0,0]
	v_pk_lshrrev_b16 v31, 8, v31 op_sel:[1,1] op_sel_hi:[0,1]
	v_lshrrev_b32_e32 v33, 16, v32
	v_cvt_f16_i16_sdwa v32, sext(v32) dst_sel:DWORD dst_unused:UNUSED_PAD src0_sel:BYTE_0
	v_cvt_f16_i16_sdwa v33, sext(v33) dst_sel:DWORD dst_unused:UNUSED_PAD src0_sel:BYTE_0
	v_pack_b32_f16 v32, v32, v33
	v_lshrrev_b32_e32 v33, 16, v31
	v_cvt_f16_i16_sdwa v31, sext(v31) dst_sel:DWORD dst_unused:UNUSED_PAD src0_sel:BYTE_0
	v_pk_mul_f16 v32, v32, v30
	v_cvt_f16_i16_sdwa v33, sext(v33) dst_sel:DWORD dst_unused:UNUSED_PAD src0_sel:BYTE_0
	v_pk_fma_f16 v238, v32, v37, v34
	v_pack_b32_f16 v31, v31, v33
	v_add_co_u32 v34, vcc_lo, v210, s28
	v_pk_fma_f16 v237, v32, v236, v35
	v_add_co_ci_u32_e64 v35, null, 0, v211, vcc_lo
	v_pk_mul_f16 v30, v31, v30
	global_load_ushort v34, v[34:35], off
	v_pk_fma_f16 v235, v30, v236, v235
	v_pk_fma_f16 v236, v30, v37, v36
	v_add_co_u32 v36, vcc_lo, v208, s28
	v_add_co_ci_u32_e64 v37, null, 0, v209, vcc_lo
	ds_read_b128 v[30:33], v89 offset:272
	global_load_dword v35, v[36:37], off offset:2
	s_waitcnt lgkmcnt(0)
	v_mul_u32_u24_sdwa v240, v30, v233 dst_sel:DWORD dst_unused:UNUSED_PAD src0_sel:WORD_0 src1_sel:DWORD
	v_mul_u32_u24_sdwa v30, v30, v233 dst_sel:DWORD dst_unused:UNUSED_PAD src0_sel:WORD_1 src1_sel:DWORD
	s_waitcnt vmcnt(1)
	v_mul_u32_u24_e32 v34, 0x10001, v34
	s_waitcnt vmcnt(0)
	v_pk_lshrrev_b16 v36, 8, v35 op_sel:[1,0] op_sel_hi:[0,0]
	v_pk_lshrrev_b16 v35, 8, v35 op_sel:[1,1] op_sel_hi:[0,1]
	v_lshrrev_b32_e32 v37, 16, v36
	v_cvt_f16_i16_sdwa v36, sext(v36) dst_sel:DWORD dst_unused:UNUSED_PAD src0_sel:BYTE_0
	v_cvt_f16_i16_sdwa v37, sext(v37) dst_sel:DWORD dst_unused:UNUSED_PAD src0_sel:BYTE_0
	v_pack_b32_f16 v36, v36, v37
	v_lshrrev_b32_e32 v37, 16, v35
	v_cvt_f16_i16_sdwa v35, sext(v35) dst_sel:DWORD dst_unused:UNUSED_PAD src0_sel:BYTE_0
	v_pk_mul_f16 v36, v36, v34
	v_cvt_f16_i16_sdwa v37, sext(v37) dst_sel:DWORD dst_unused:UNUSED_PAD src0_sel:BYTE_0
	v_pk_fma_f16 v237, v36, v239, v237
	v_pack_b32_f16 v35, v35, v37
	v_pk_fma_f16 v238, v36, v240, v238
	v_pk_mul_f16 v34, v35, v34
	v_pk_fma_f16 v235, v34, v239, v235
	v_pk_fma_f16 v236, v34, v240, v236
	v_add_co_u32 v34, vcc_lo, v206, s28
	v_add_co_ci_u32_e64 v35, null, 0, v207, vcc_lo
	v_add_co_u32 v36, vcc_lo, v204, s28
	v_add_co_ci_u32_e64 v37, null, 0, v205, vcc_lo
	global_load_ushort v34, v[34:35], off
	global_load_dword v35, v[36:37], off offset:2
	s_waitcnt vmcnt(1)
	v_mul_u32_u24_e32 v34, 0x10001, v34
	s_waitcnt vmcnt(0)
	v_pk_lshrrev_b16 v36, 8, v35 op_sel:[1,0] op_sel_hi:[0,0]
	v_pk_lshrrev_b16 v35, 8, v35 op_sel:[1,1] op_sel_hi:[0,1]
	v_lshrrev_b32_e32 v37, 16, v36
	v_cvt_f16_i16_sdwa v36, sext(v36) dst_sel:DWORD dst_unused:UNUSED_PAD src0_sel:BYTE_0
	v_cvt_f16_i16_sdwa v37, sext(v37) dst_sel:DWORD dst_unused:UNUSED_PAD src0_sel:BYTE_0
	v_pack_b32_f16 v36, v36, v37
	v_lshrrev_b32_e32 v37, 16, v35
	v_cvt_f16_i16_sdwa v35, sext(v35) dst_sel:DWORD dst_unused:UNUSED_PAD src0_sel:BYTE_0
	v_pk_mul_f16 v36, v36, v34
	v_cvt_f16_i16_sdwa v37, sext(v37) dst_sel:DWORD dst_unused:UNUSED_PAD src0_sel:BYTE_0
	v_pk_fma_f16 v237, v36, v26, v237
	v_pack_b32_f16 v35, v35, v37
	v_pk_fma_f16 v238, v36, v30, v238
	v_pk_mul_f16 v34, v35, v34
	v_pk_fma_f16 v26, v34, v26, v235
	v_pk_fma_f16 v30, v34, v30, v236
	v_add_co_u32 v34, vcc_lo, v202, s28
	v_add_co_ci_u32_e64 v35, null, 0, v203, vcc_lo
	v_add_co_u32 v36, vcc_lo, v200, s28
	v_add_co_ci_u32_e64 v37, null, 0, v201, vcc_lo
	global_load_ushort v34, v[34:35], off
	v_mul_u32_u24_sdwa v235, v27, v233 dst_sel:DWORD dst_unused:UNUSED_PAD src0_sel:WORD_0 src1_sel:DWORD
	v_mul_u32_u24_sdwa v236, v31, v233 dst_sel:DWORD dst_unused:UNUSED_PAD src0_sel:WORD_0 src1_sel:DWORD
	global_load_dword v35, v[36:37], off offset:2
	s_waitcnt vmcnt(1)
	v_mul_u32_u24_e32 v34, 0x10001, v34
	s_waitcnt vmcnt(0)
	v_pk_lshrrev_b16 v36, 8, v35 op_sel:[1,0] op_sel_hi:[0,0]
	v_pk_lshrrev_b16 v35, 8, v35 op_sel:[1,1] op_sel_hi:[0,1]
	v_lshrrev_b32_e32 v37, 16, v36
	v_cvt_f16_i16_sdwa v36, sext(v36) dst_sel:DWORD dst_unused:UNUSED_PAD src0_sel:BYTE_0
	v_cvt_f16_i16_sdwa v37, sext(v37) dst_sel:DWORD dst_unused:UNUSED_PAD src0_sel:BYTE_0
	v_pack_b32_f16 v36, v36, v37
	v_lshrrev_b32_e32 v37, 16, v35
	v_cvt_f16_i16_sdwa v35, sext(v35) dst_sel:DWORD dst_unused:UNUSED_PAD src0_sel:BYTE_0
	v_pk_mul_f16 v36, v36, v34
	v_cvt_f16_i16_sdwa v37, sext(v37) dst_sel:DWORD dst_unused:UNUSED_PAD src0_sel:BYTE_0
	v_pack_b32_f16 v35, v35, v37
	v_pk_mul_f16 v34, v35, v34
	v_pk_fma_f16 v35, v36, v235, v237
	v_pk_fma_f16 v36, v36, v236, v238
	;; [unrolled: 1-line block ×3, first 2 shown]
	v_add_co_u32 v26, vcc_lo, v198, s28
	v_pk_fma_f16 v34, v34, v236, v30
	v_mul_u32_u24_sdwa v235, v27, v233 dst_sel:DWORD dst_unused:UNUSED_PAD src0_sel:WORD_1 src1_sel:DWORD
	v_add_co_ci_u32_e64 v27, null, 0, v199, vcc_lo
	v_add_co_u32 v30, vcc_lo, v196, s28
	v_mul_u32_u24_sdwa v236, v31, v233 dst_sel:DWORD dst_unused:UNUSED_PAD src0_sel:WORD_1 src1_sel:DWORD
	v_add_co_ci_u32_e64 v31, null, 0, v197, vcc_lo
	global_load_ushort v26, v[26:27], off
	global_load_dword v27, v[30:31], off offset:2
	s_waitcnt vmcnt(1)
	v_mul_u32_u24_e32 v26, 0x10001, v26
	s_waitcnt vmcnt(0)
	v_pk_lshrrev_b16 v30, 8, v27 op_sel:[1,0] op_sel_hi:[0,0]
	v_pk_lshrrev_b16 v27, 8, v27 op_sel:[1,1] op_sel_hi:[0,1]
	v_lshrrev_b32_e32 v31, 16, v30
	v_cvt_f16_i16_sdwa v30, sext(v30) dst_sel:DWORD dst_unused:UNUSED_PAD src0_sel:BYTE_0
	v_cvt_f16_i16_sdwa v31, sext(v31) dst_sel:DWORD dst_unused:UNUSED_PAD src0_sel:BYTE_0
	v_pack_b32_f16 v30, v30, v31
	v_lshrrev_b32_e32 v31, 16, v27
	v_cvt_f16_i16_sdwa v27, sext(v27) dst_sel:DWORD dst_unused:UNUSED_PAD src0_sel:BYTE_0
	v_pk_mul_f16 v30, v30, v26
	v_cvt_f16_i16_sdwa v31, sext(v31) dst_sel:DWORD dst_unused:UNUSED_PAD src0_sel:BYTE_0
	v_pk_fma_f16 v35, v30, v235, v35
	v_pack_b32_f16 v27, v27, v31
	v_pk_fma_f16 v36, v30, v236, v36
	v_pk_mul_f16 v26, v27, v26
	v_pk_fma_f16 v37, v26, v235, v37
	v_pk_fma_f16 v34, v26, v236, v34
	v_add_co_u32 v26, vcc_lo, v194, s28
	v_add_co_ci_u32_e64 v27, null, 0, v195, vcc_lo
	v_add_co_u32 v30, vcc_lo, v192, s28
	v_add_co_ci_u32_e64 v31, null, 0, v193, vcc_lo
	global_load_ushort v26, v[26:27], off
	v_mul_u32_u24_sdwa v235, v28, v233 dst_sel:DWORD dst_unused:UNUSED_PAD src0_sel:WORD_0 src1_sel:DWORD
	v_mul_u32_u24_sdwa v236, v32, v233 dst_sel:DWORD dst_unused:UNUSED_PAD src0_sel:WORD_0 src1_sel:DWORD
	global_load_dword v27, v[30:31], off offset:2
	v_mul_u32_u24_sdwa v28, v28, v233 dst_sel:DWORD dst_unused:UNUSED_PAD src0_sel:WORD_1 src1_sel:DWORD
	v_mul_u32_u24_sdwa v32, v32, v233 dst_sel:DWORD dst_unused:UNUSED_PAD src0_sel:WORD_1 src1_sel:DWORD
	s_waitcnt vmcnt(1)
	v_mul_u32_u24_e32 v26, 0x10001, v26
	s_waitcnt vmcnt(0)
	v_pk_lshrrev_b16 v30, 8, v27 op_sel:[1,0] op_sel_hi:[0,0]
	v_pk_lshrrev_b16 v27, 8, v27 op_sel:[1,1] op_sel_hi:[0,1]
	v_lshrrev_b32_e32 v31, 16, v30
	v_cvt_f16_i16_sdwa v30, sext(v30) dst_sel:DWORD dst_unused:UNUSED_PAD src0_sel:BYTE_0
	v_cvt_f16_i16_sdwa v31, sext(v31) dst_sel:DWORD dst_unused:UNUSED_PAD src0_sel:BYTE_0
	v_pack_b32_f16 v30, v30, v31
	v_lshrrev_b32_e32 v31, 16, v27
	v_cvt_f16_i16_sdwa v27, sext(v27) dst_sel:DWORD dst_unused:UNUSED_PAD src0_sel:BYTE_0
	v_pk_mul_f16 v30, v30, v26
	v_cvt_f16_i16_sdwa v31, sext(v31) dst_sel:DWORD dst_unused:UNUSED_PAD src0_sel:BYTE_0
	v_pk_fma_f16 v35, v30, v235, v35
	v_pack_b32_f16 v27, v27, v31
	v_pk_fma_f16 v36, v30, v236, v36
	v_pk_mul_f16 v26, v27, v26
	v_pk_fma_f16 v37, v26, v235, v37
	v_pk_fma_f16 v34, v26, v236, v34
	v_add_co_u32 v26, vcc_lo, v190, s28
	v_add_co_ci_u32_e64 v27, null, 0, v191, vcc_lo
	v_add_co_u32 v30, vcc_lo, v188, s28
	v_add_co_ci_u32_e64 v31, null, 0, v189, vcc_lo
	global_load_ushort v26, v[26:27], off
	v_mul_u32_u24_sdwa v235, v22, v233 dst_sel:DWORD dst_unused:UNUSED_PAD src0_sel:WORD_0 src1_sel:DWORD
	v_mul_u32_u24_sdwa v22, v22, v233 dst_sel:DWORD dst_unused:UNUSED_PAD src0_sel:WORD_1 src1_sel:DWORD
	global_load_dword v27, v[30:31], off offset:2
	s_waitcnt vmcnt(1)
	v_mul_u32_u24_e32 v26, 0x10001, v26
	s_waitcnt vmcnt(0)
	v_pk_lshrrev_b16 v30, 8, v27 op_sel:[1,0] op_sel_hi:[0,0]
	v_pk_lshrrev_b16 v27, 8, v27 op_sel:[1,1] op_sel_hi:[0,1]
	v_lshrrev_b32_e32 v31, 16, v30
	v_cvt_f16_i16_sdwa v30, sext(v30) dst_sel:DWORD dst_unused:UNUSED_PAD src0_sel:BYTE_0
	v_cvt_f16_i16_sdwa v31, sext(v31) dst_sel:DWORD dst_unused:UNUSED_PAD src0_sel:BYTE_0
	v_pack_b32_f16 v30, v30, v31
	v_lshrrev_b32_e32 v31, 16, v27
	v_cvt_f16_i16_sdwa v27, sext(v27) dst_sel:DWORD dst_unused:UNUSED_PAD src0_sel:BYTE_0
	v_pk_mul_f16 v30, v30, v26
	v_cvt_f16_i16_sdwa v31, sext(v31) dst_sel:DWORD dst_unused:UNUSED_PAD src0_sel:BYTE_0
	v_pk_fma_f16 v35, v30, v28, v35
	v_pack_b32_f16 v27, v27, v31
	v_pk_fma_f16 v36, v30, v32, v36
	v_pk_mul_f16 v26, v27, v26
	v_pk_fma_f16 v28, v26, v28, v37
	v_pk_fma_f16 v32, v26, v32, v34
	v_add_co_u32 v26, vcc_lo, v186, s28
	v_add_co_ci_u32_e64 v27, null, 0, v187, vcc_lo
	v_add_co_u32 v30, vcc_lo, v184, s28
	v_add_co_ci_u32_e64 v31, null, 0, v185, vcc_lo
	global_load_ushort v26, v[26:27], off
	v_mul_u32_u24_sdwa v34, v29, v233 dst_sel:DWORD dst_unused:UNUSED_PAD src0_sel:WORD_0 src1_sel:DWORD
	v_mul_u32_u24_sdwa v37, v33, v233 dst_sel:DWORD dst_unused:UNUSED_PAD src0_sel:WORD_0 src1_sel:DWORD
	global_load_dword v27, v[30:31], off offset:2
	v_mul_u32_u24_sdwa v33, v33, v233 dst_sel:DWORD dst_unused:UNUSED_PAD src0_sel:WORD_1 src1_sel:DWORD
	s_waitcnt vmcnt(1)
	v_mul_u32_u24_e32 v26, 0x10001, v26
	s_waitcnt vmcnt(0)
	v_pk_lshrrev_b16 v30, 8, v27 op_sel:[1,0] op_sel_hi:[0,0]
	v_pk_lshrrev_b16 v27, 8, v27 op_sel:[1,1] op_sel_hi:[0,1]
	v_lshrrev_b32_e32 v31, 16, v30
	v_cvt_f16_i16_sdwa v30, sext(v30) dst_sel:DWORD dst_unused:UNUSED_PAD src0_sel:BYTE_0
	v_cvt_f16_i16_sdwa v31, sext(v31) dst_sel:DWORD dst_unused:UNUSED_PAD src0_sel:BYTE_0
	v_pack_b32_f16 v30, v30, v31
	v_lshrrev_b32_e32 v31, 16, v27
	v_cvt_f16_i16_sdwa v27, sext(v27) dst_sel:DWORD dst_unused:UNUSED_PAD src0_sel:BYTE_0
	v_pk_mul_f16 v30, v30, v26
	v_cvt_f16_i16_sdwa v31, sext(v31) dst_sel:DWORD dst_unused:UNUSED_PAD src0_sel:BYTE_0
	v_pack_b32_f16 v27, v27, v31
	v_pk_fma_f16 v31, v30, v34, v35
	v_mul_u32_u24_sdwa v35, v29, v233 dst_sel:DWORD dst_unused:UNUSED_PAD src0_sel:WORD_1 src1_sel:DWORD
	v_pk_fma_f16 v30, v30, v37, v36
	v_pk_mul_f16 v26, v27, v26
	v_pk_fma_f16 v34, v26, v34, v28
	v_pk_fma_f16 v32, v26, v37, v32
	v_add_co_u32 v26, vcc_lo, v182, s28
	v_add_co_ci_u32_e64 v27, null, 0, v183, vcc_lo
	v_add_co_u32 v28, vcc_lo, v180, s28
	v_add_co_ci_u32_e64 v29, null, 0, v181, vcc_lo
	global_load_ushort v26, v[26:27], off
	global_load_dword v27, v[28:29], off offset:2
	s_waitcnt vmcnt(1)
	v_mul_u32_u24_e32 v26, 0x10001, v26
	s_waitcnt vmcnt(0)
	v_pk_lshrrev_b16 v28, 8, v27 op_sel:[1,0] op_sel_hi:[0,0]
	v_pk_lshrrev_b16 v27, 8, v27 op_sel:[1,1] op_sel_hi:[0,1]
	v_lshrrev_b32_e32 v29, 16, v28
	v_cvt_f16_i16_sdwa v28, sext(v28) dst_sel:DWORD dst_unused:UNUSED_PAD src0_sel:BYTE_0
	v_cvt_f16_i16_sdwa v29, sext(v29) dst_sel:DWORD dst_unused:UNUSED_PAD src0_sel:BYTE_0
	v_pack_b32_f16 v28, v28, v29
	v_lshrrev_b32_e32 v29, 16, v27
	v_cvt_f16_i16_sdwa v27, sext(v27) dst_sel:DWORD dst_unused:UNUSED_PAD src0_sel:BYTE_0
	v_pk_mul_f16 v28, v28, v26
	v_cvt_f16_i16_sdwa v29, sext(v29) dst_sel:DWORD dst_unused:UNUSED_PAD src0_sel:BYTE_0
	v_pk_fma_f16 v37, v28, v33, v30
	v_pack_b32_f16 v27, v27, v29
	v_add_co_u32 v30, vcc_lo, v178, s28
	v_pk_fma_f16 v36, v28, v35, v31
	v_add_co_ci_u32_e64 v31, null, 0, v179, vcc_lo
	v_pk_mul_f16 v26, v27, v26
	global_load_ushort v30, v[30:31], off
	v_pk_fma_f16 v34, v26, v35, v34
	v_pk_fma_f16 v35, v26, v33, v32
	v_add_co_u32 v32, vcc_lo, v176, s28
	v_add_co_ci_u32_e64 v33, null, 0, v177, vcc_lo
	ds_read_b128 v[26:29], v89 offset:288
	global_load_dword v31, v[32:33], off offset:2
	s_waitcnt lgkmcnt(0)
	v_mul_u32_u24_sdwa v236, v26, v233 dst_sel:DWORD dst_unused:UNUSED_PAD src0_sel:WORD_0 src1_sel:DWORD
	v_mul_u32_u24_sdwa v26, v26, v233 dst_sel:DWORD dst_unused:UNUSED_PAD src0_sel:WORD_1 src1_sel:DWORD
	s_waitcnt vmcnt(1)
	v_mul_u32_u24_e32 v30, 0x10001, v30
	s_waitcnt vmcnt(0)
	v_pk_lshrrev_b16 v32, 8, v31 op_sel:[1,0] op_sel_hi:[0,0]
	v_pk_lshrrev_b16 v31, 8, v31 op_sel:[1,1] op_sel_hi:[0,1]
	v_lshrrev_b32_e32 v33, 16, v32
	v_cvt_f16_i16_sdwa v32, sext(v32) dst_sel:DWORD dst_unused:UNUSED_PAD src0_sel:BYTE_0
	v_cvt_f16_i16_sdwa v33, sext(v33) dst_sel:DWORD dst_unused:UNUSED_PAD src0_sel:BYTE_0
	v_pack_b32_f16 v32, v32, v33
	v_lshrrev_b32_e32 v33, 16, v31
	v_cvt_f16_i16_sdwa v31, sext(v31) dst_sel:DWORD dst_unused:UNUSED_PAD src0_sel:BYTE_0
	v_pk_mul_f16 v32, v32, v30
	v_cvt_f16_i16_sdwa v33, sext(v33) dst_sel:DWORD dst_unused:UNUSED_PAD src0_sel:BYTE_0
	v_pk_fma_f16 v36, v32, v235, v36
	v_pack_b32_f16 v31, v31, v33
	v_pk_fma_f16 v37, v32, v236, v37
	v_pk_mul_f16 v30, v31, v30
	v_pk_fma_f16 v34, v30, v235, v34
	v_pk_fma_f16 v35, v30, v236, v35
	v_add_co_u32 v30, vcc_lo, v174, s28
	v_add_co_ci_u32_e64 v31, null, 0, v175, vcc_lo
	v_add_co_u32 v32, vcc_lo, v172, s28
	v_add_co_ci_u32_e64 v33, null, 0, v173, vcc_lo
	global_load_ushort v30, v[30:31], off
	global_load_dword v31, v[32:33], off offset:2
	s_waitcnt vmcnt(1)
	v_mul_u32_u24_e32 v30, 0x10001, v30
	s_waitcnt vmcnt(0)
	v_pk_lshrrev_b16 v32, 8, v31 op_sel:[1,0] op_sel_hi:[0,0]
	v_pk_lshrrev_b16 v31, 8, v31 op_sel:[1,1] op_sel_hi:[0,1]
	v_lshrrev_b32_e32 v33, 16, v32
	v_cvt_f16_i16_sdwa v32, sext(v32) dst_sel:DWORD dst_unused:UNUSED_PAD src0_sel:BYTE_0
	v_cvt_f16_i16_sdwa v33, sext(v33) dst_sel:DWORD dst_unused:UNUSED_PAD src0_sel:BYTE_0
	v_pack_b32_f16 v32, v32, v33
	v_lshrrev_b32_e32 v33, 16, v31
	v_cvt_f16_i16_sdwa v31, sext(v31) dst_sel:DWORD dst_unused:UNUSED_PAD src0_sel:BYTE_0
	v_pk_mul_f16 v32, v32, v30
	v_cvt_f16_i16_sdwa v33, sext(v33) dst_sel:DWORD dst_unused:UNUSED_PAD src0_sel:BYTE_0
	v_pk_fma_f16 v36, v32, v22, v36
	v_pack_b32_f16 v31, v31, v33
	v_pk_fma_f16 v37, v32, v26, v37
	v_pk_mul_f16 v30, v31, v30
	v_pk_fma_f16 v22, v30, v22, v34
	v_pk_fma_f16 v26, v30, v26, v35
	v_add_co_u32 v30, vcc_lo, v170, s28
	v_add_co_ci_u32_e64 v31, null, 0, v171, vcc_lo
	v_add_co_u32 v32, vcc_lo, v168, s28
	v_add_co_ci_u32_e64 v33, null, 0, v169, vcc_lo
	global_load_ushort v30, v[30:31], off
	v_mul_u32_u24_sdwa v34, v23, v233 dst_sel:DWORD dst_unused:UNUSED_PAD src0_sel:WORD_0 src1_sel:DWORD
	v_mul_u32_u24_sdwa v35, v27, v233 dst_sel:DWORD dst_unused:UNUSED_PAD src0_sel:WORD_0 src1_sel:DWORD
	global_load_dword v31, v[32:33], off offset:2
	s_waitcnt vmcnt(1)
	v_mul_u32_u24_e32 v30, 0x10001, v30
	s_waitcnt vmcnt(0)
	v_pk_lshrrev_b16 v32, 8, v31 op_sel:[1,0] op_sel_hi:[0,0]
	v_pk_lshrrev_b16 v31, 8, v31 op_sel:[1,1] op_sel_hi:[0,1]
	v_lshrrev_b32_e32 v33, 16, v32
	v_cvt_f16_i16_sdwa v32, sext(v32) dst_sel:DWORD dst_unused:UNUSED_PAD src0_sel:BYTE_0
	v_cvt_f16_i16_sdwa v33, sext(v33) dst_sel:DWORD dst_unused:UNUSED_PAD src0_sel:BYTE_0
	v_pack_b32_f16 v32, v32, v33
	v_lshrrev_b32_e32 v33, 16, v31
	v_cvt_f16_i16_sdwa v31, sext(v31) dst_sel:DWORD dst_unused:UNUSED_PAD src0_sel:BYTE_0
	v_pk_mul_f16 v32, v32, v30
	v_cvt_f16_i16_sdwa v33, sext(v33) dst_sel:DWORD dst_unused:UNUSED_PAD src0_sel:BYTE_0
	v_pack_b32_f16 v31, v31, v33
	v_pk_mul_f16 v30, v31, v30
	v_pk_fma_f16 v31, v32, v34, v36
	v_pk_fma_f16 v32, v32, v35, v37
	;; [unrolled: 1-line block ×3, first 2 shown]
	v_add_co_u32 v22, vcc_lo, v166, s28
	v_pk_fma_f16 v30, v30, v35, v26
	v_mul_u32_u24_sdwa v34, v23, v233 dst_sel:DWORD dst_unused:UNUSED_PAD src0_sel:WORD_1 src1_sel:DWORD
	v_add_co_ci_u32_e64 v23, null, 0, v167, vcc_lo
	v_add_co_u32 v26, vcc_lo, v164, s28
	v_mul_u32_u24_sdwa v35, v27, v233 dst_sel:DWORD dst_unused:UNUSED_PAD src0_sel:WORD_1 src1_sel:DWORD
	v_add_co_ci_u32_e64 v27, null, 0, v165, vcc_lo
	global_load_ushort v22, v[22:23], off
	global_load_dword v23, v[26:27], off offset:2
	s_waitcnt vmcnt(1)
	v_mul_u32_u24_e32 v22, 0x10001, v22
	s_waitcnt vmcnt(0)
	v_pk_lshrrev_b16 v26, 8, v23 op_sel:[1,0] op_sel_hi:[0,0]
	v_pk_lshrrev_b16 v23, 8, v23 op_sel:[1,1] op_sel_hi:[0,1]
	v_lshrrev_b32_e32 v27, 16, v26
	v_cvt_f16_i16_sdwa v26, sext(v26) dst_sel:DWORD dst_unused:UNUSED_PAD src0_sel:BYTE_0
	v_cvt_f16_i16_sdwa v27, sext(v27) dst_sel:DWORD dst_unused:UNUSED_PAD src0_sel:BYTE_0
	v_pack_b32_f16 v26, v26, v27
	v_lshrrev_b32_e32 v27, 16, v23
	v_cvt_f16_i16_sdwa v23, sext(v23) dst_sel:DWORD dst_unused:UNUSED_PAD src0_sel:BYTE_0
	v_pk_mul_f16 v26, v26, v22
	v_cvt_f16_i16_sdwa v27, sext(v27) dst_sel:DWORD dst_unused:UNUSED_PAD src0_sel:BYTE_0
	v_pk_fma_f16 v31, v26, v34, v31
	v_pack_b32_f16 v23, v23, v27
	v_pk_fma_f16 v32, v26, v35, v32
	v_pk_mul_f16 v22, v23, v22
	v_pk_fma_f16 v33, v22, v34, v33
	v_pk_fma_f16 v30, v22, v35, v30
	v_add_co_u32 v22, vcc_lo, v162, s28
	v_add_co_ci_u32_e64 v23, null, 0, v163, vcc_lo
	v_add_co_u32 v26, vcc_lo, v160, s28
	v_add_co_ci_u32_e64 v27, null, 0, v161, vcc_lo
	global_load_ushort v22, v[22:23], off
	v_mul_u32_u24_sdwa v34, v24, v233 dst_sel:DWORD dst_unused:UNUSED_PAD src0_sel:WORD_0 src1_sel:DWORD
	v_mul_u32_u24_sdwa v35, v28, v233 dst_sel:DWORD dst_unused:UNUSED_PAD src0_sel:WORD_0 src1_sel:DWORD
	global_load_dword v23, v[26:27], off offset:2
	v_mul_u32_u24_sdwa v24, v24, v233 dst_sel:DWORD dst_unused:UNUSED_PAD src0_sel:WORD_1 src1_sel:DWORD
	v_mul_u32_u24_sdwa v28, v28, v233 dst_sel:DWORD dst_unused:UNUSED_PAD src0_sel:WORD_1 src1_sel:DWORD
	s_waitcnt vmcnt(1)
	v_mul_u32_u24_e32 v22, 0x10001, v22
	s_waitcnt vmcnt(0)
	v_pk_lshrrev_b16 v26, 8, v23 op_sel:[1,0] op_sel_hi:[0,0]
	v_pk_lshrrev_b16 v23, 8, v23 op_sel:[1,1] op_sel_hi:[0,1]
	v_lshrrev_b32_e32 v27, 16, v26
	v_cvt_f16_i16_sdwa v26, sext(v26) dst_sel:DWORD dst_unused:UNUSED_PAD src0_sel:BYTE_0
	v_cvt_f16_i16_sdwa v27, sext(v27) dst_sel:DWORD dst_unused:UNUSED_PAD src0_sel:BYTE_0
	v_pack_b32_f16 v26, v26, v27
	v_lshrrev_b32_e32 v27, 16, v23
	v_cvt_f16_i16_sdwa v23, sext(v23) dst_sel:DWORD dst_unused:UNUSED_PAD src0_sel:BYTE_0
	v_pk_mul_f16 v26, v26, v22
	v_cvt_f16_i16_sdwa v27, sext(v27) dst_sel:DWORD dst_unused:UNUSED_PAD src0_sel:BYTE_0
	v_pk_fma_f16 v31, v26, v34, v31
	v_pack_b32_f16 v23, v23, v27
	v_pk_fma_f16 v32, v26, v35, v32
	v_pk_mul_f16 v22, v23, v22
	v_pk_fma_f16 v33, v22, v34, v33
	v_pk_fma_f16 v30, v22, v35, v30
	v_add_co_u32 v22, vcc_lo, v158, s28
	v_add_co_ci_u32_e64 v23, null, 0, v159, vcc_lo
	v_add_co_u32 v26, vcc_lo, v156, s28
	v_add_co_ci_u32_e64 v27, null, 0, v157, vcc_lo
	global_load_ushort v22, v[22:23], off
	v_mul_u32_u24_sdwa v34, v18, v233 dst_sel:DWORD dst_unused:UNUSED_PAD src0_sel:WORD_0 src1_sel:DWORD
	v_mul_u32_u24_sdwa v18, v18, v233 dst_sel:DWORD dst_unused:UNUSED_PAD src0_sel:WORD_1 src1_sel:DWORD
	global_load_dword v23, v[26:27], off offset:2
	s_waitcnt vmcnt(1)
	v_mul_u32_u24_e32 v22, 0x10001, v22
	s_waitcnt vmcnt(0)
	v_pk_lshrrev_b16 v26, 8, v23 op_sel:[1,0] op_sel_hi:[0,0]
	v_pk_lshrrev_b16 v23, 8, v23 op_sel:[1,1] op_sel_hi:[0,1]
	v_lshrrev_b32_e32 v27, 16, v26
	v_cvt_f16_i16_sdwa v26, sext(v26) dst_sel:DWORD dst_unused:UNUSED_PAD src0_sel:BYTE_0
	v_cvt_f16_i16_sdwa v27, sext(v27) dst_sel:DWORD dst_unused:UNUSED_PAD src0_sel:BYTE_0
	v_pack_b32_f16 v26, v26, v27
	v_lshrrev_b32_e32 v27, 16, v23
	v_cvt_f16_i16_sdwa v23, sext(v23) dst_sel:DWORD dst_unused:UNUSED_PAD src0_sel:BYTE_0
	v_pk_mul_f16 v26, v26, v22
	v_cvt_f16_i16_sdwa v27, sext(v27) dst_sel:DWORD dst_unused:UNUSED_PAD src0_sel:BYTE_0
	v_pk_fma_f16 v31, v26, v24, v31
	v_pack_b32_f16 v23, v23, v27
	v_pk_fma_f16 v32, v26, v28, v32
	v_pk_mul_f16 v22, v23, v22
	v_pk_fma_f16 v24, v22, v24, v33
	v_pk_fma_f16 v28, v22, v28, v30
	v_add_co_u32 v22, vcc_lo, v154, s28
	v_add_co_ci_u32_e64 v23, null, 0, v155, vcc_lo
	v_add_co_u32 v26, vcc_lo, v152, s28
	v_add_co_ci_u32_e64 v27, null, 0, v153, vcc_lo
	global_load_ushort v22, v[22:23], off
	v_mul_u32_u24_sdwa v30, v25, v233 dst_sel:DWORD dst_unused:UNUSED_PAD src0_sel:WORD_0 src1_sel:DWORD
	v_mul_u32_u24_sdwa v33, v29, v233 dst_sel:DWORD dst_unused:UNUSED_PAD src0_sel:WORD_0 src1_sel:DWORD
	global_load_dword v23, v[26:27], off offset:2
	v_mul_u32_u24_sdwa v29, v29, v233 dst_sel:DWORD dst_unused:UNUSED_PAD src0_sel:WORD_1 src1_sel:DWORD
	s_waitcnt vmcnt(1)
	v_mul_u32_u24_e32 v22, 0x10001, v22
	s_waitcnt vmcnt(0)
	v_pk_lshrrev_b16 v26, 8, v23 op_sel:[1,0] op_sel_hi:[0,0]
	v_pk_lshrrev_b16 v23, 8, v23 op_sel:[1,1] op_sel_hi:[0,1]
	v_lshrrev_b32_e32 v27, 16, v26
	v_cvt_f16_i16_sdwa v26, sext(v26) dst_sel:DWORD dst_unused:UNUSED_PAD src0_sel:BYTE_0
	v_cvt_f16_i16_sdwa v27, sext(v27) dst_sel:DWORD dst_unused:UNUSED_PAD src0_sel:BYTE_0
	v_pack_b32_f16 v26, v26, v27
	v_lshrrev_b32_e32 v27, 16, v23
	v_cvt_f16_i16_sdwa v23, sext(v23) dst_sel:DWORD dst_unused:UNUSED_PAD src0_sel:BYTE_0
	v_pk_mul_f16 v26, v26, v22
	v_cvt_f16_i16_sdwa v27, sext(v27) dst_sel:DWORD dst_unused:UNUSED_PAD src0_sel:BYTE_0
	v_pack_b32_f16 v23, v23, v27
	v_pk_fma_f16 v27, v26, v30, v31
	v_mul_u32_u24_sdwa v31, v25, v233 dst_sel:DWORD dst_unused:UNUSED_PAD src0_sel:WORD_1 src1_sel:DWORD
	v_pk_fma_f16 v26, v26, v33, v32
	v_pk_mul_f16 v22, v23, v22
	v_pk_fma_f16 v30, v22, v30, v24
	v_pk_fma_f16 v28, v22, v33, v28
	v_add_co_u32 v22, vcc_lo, v150, s28
	v_add_co_ci_u32_e64 v23, null, 0, v151, vcc_lo
	v_add_co_u32 v24, vcc_lo, v148, s28
	v_add_co_ci_u32_e64 v25, null, 0, v149, vcc_lo
	global_load_ushort v22, v[22:23], off
	global_load_dword v23, v[24:25], off offset:2
	s_waitcnt vmcnt(1)
	v_mul_u32_u24_e32 v22, 0x10001, v22
	s_waitcnt vmcnt(0)
	v_pk_lshrrev_b16 v24, 8, v23 op_sel:[1,0] op_sel_hi:[0,0]
	v_pk_lshrrev_b16 v23, 8, v23 op_sel:[1,1] op_sel_hi:[0,1]
	v_lshrrev_b32_e32 v25, 16, v24
	v_cvt_f16_i16_sdwa v24, sext(v24) dst_sel:DWORD dst_unused:UNUSED_PAD src0_sel:BYTE_0
	v_cvt_f16_i16_sdwa v25, sext(v25) dst_sel:DWORD dst_unused:UNUSED_PAD src0_sel:BYTE_0
	v_pack_b32_f16 v24, v24, v25
	v_lshrrev_b32_e32 v25, 16, v23
	v_cvt_f16_i16_sdwa v23, sext(v23) dst_sel:DWORD dst_unused:UNUSED_PAD src0_sel:BYTE_0
	v_pk_mul_f16 v24, v24, v22
	v_cvt_f16_i16_sdwa v25, sext(v25) dst_sel:DWORD dst_unused:UNUSED_PAD src0_sel:BYTE_0
	v_pk_fma_f16 v33, v24, v29, v26
	v_pack_b32_f16 v23, v23, v25
	v_add_co_u32 v26, vcc_lo, v146, s28
	v_pk_fma_f16 v32, v24, v31, v27
	v_add_co_ci_u32_e64 v27, null, 0, v147, vcc_lo
	v_pk_mul_f16 v22, v23, v22
	global_load_ushort v26, v[26:27], off
	v_pk_fma_f16 v30, v22, v31, v30
	v_pk_fma_f16 v31, v22, v29, v28
	v_add_co_u32 v28, vcc_lo, v144, s28
	v_add_co_ci_u32_e64 v29, null, 0, v145, vcc_lo
	ds_read_b128 v[22:25], v89 offset:304
	global_load_dword v27, v[28:29], off offset:2
	s_waitcnt lgkmcnt(0)
	v_mul_u32_u24_sdwa v35, v22, v233 dst_sel:DWORD dst_unused:UNUSED_PAD src0_sel:WORD_0 src1_sel:DWORD
	v_mul_u32_u24_sdwa v22, v22, v233 dst_sel:DWORD dst_unused:UNUSED_PAD src0_sel:WORD_1 src1_sel:DWORD
	s_waitcnt vmcnt(1)
	v_mul_u32_u24_e32 v26, 0x10001, v26
	s_waitcnt vmcnt(0)
	v_pk_lshrrev_b16 v28, 8, v27 op_sel:[1,0] op_sel_hi:[0,0]
	v_pk_lshrrev_b16 v27, 8, v27 op_sel:[1,1] op_sel_hi:[0,1]
	v_lshrrev_b32_e32 v29, 16, v28
	v_cvt_f16_i16_sdwa v28, sext(v28) dst_sel:DWORD dst_unused:UNUSED_PAD src0_sel:BYTE_0
	v_cvt_f16_i16_sdwa v29, sext(v29) dst_sel:DWORD dst_unused:UNUSED_PAD src0_sel:BYTE_0
	v_pack_b32_f16 v28, v28, v29
	v_lshrrev_b32_e32 v29, 16, v27
	v_cvt_f16_i16_sdwa v27, sext(v27) dst_sel:DWORD dst_unused:UNUSED_PAD src0_sel:BYTE_0
	v_pk_mul_f16 v28, v28, v26
	v_cvt_f16_i16_sdwa v29, sext(v29) dst_sel:DWORD dst_unused:UNUSED_PAD src0_sel:BYTE_0
	v_pk_fma_f16 v32, v28, v34, v32
	v_pack_b32_f16 v27, v27, v29
	v_pk_fma_f16 v33, v28, v35, v33
	v_pk_mul_f16 v26, v27, v26
	v_pk_fma_f16 v30, v26, v34, v30
	v_pk_fma_f16 v31, v26, v35, v31
	v_add_co_u32 v26, vcc_lo, v142, s28
	v_add_co_ci_u32_e64 v27, null, 0, v143, vcc_lo
	v_add_co_u32 v28, vcc_lo, v140, s28
	v_add_co_ci_u32_e64 v29, null, 0, v141, vcc_lo
	global_load_ushort v26, v[26:27], off
	global_load_dword v27, v[28:29], off offset:2
	s_waitcnt vmcnt(1)
	v_mul_u32_u24_e32 v26, 0x10001, v26
	s_waitcnt vmcnt(0)
	v_pk_lshrrev_b16 v28, 8, v27 op_sel:[1,0] op_sel_hi:[0,0]
	v_pk_lshrrev_b16 v27, 8, v27 op_sel:[1,1] op_sel_hi:[0,1]
	v_lshrrev_b32_e32 v29, 16, v28
	v_cvt_f16_i16_sdwa v28, sext(v28) dst_sel:DWORD dst_unused:UNUSED_PAD src0_sel:BYTE_0
	v_cvt_f16_i16_sdwa v29, sext(v29) dst_sel:DWORD dst_unused:UNUSED_PAD src0_sel:BYTE_0
	v_pack_b32_f16 v28, v28, v29
	v_lshrrev_b32_e32 v29, 16, v27
	v_cvt_f16_i16_sdwa v27, sext(v27) dst_sel:DWORD dst_unused:UNUSED_PAD src0_sel:BYTE_0
	v_pk_mul_f16 v28, v28, v26
	v_cvt_f16_i16_sdwa v29, sext(v29) dst_sel:DWORD dst_unused:UNUSED_PAD src0_sel:BYTE_0
	v_pk_fma_f16 v32, v28, v18, v32
	v_pack_b32_f16 v27, v27, v29
	v_pk_fma_f16 v33, v28, v22, v33
	v_pk_mul_f16 v26, v27, v26
	v_pk_fma_f16 v18, v26, v18, v30
	v_pk_fma_f16 v22, v26, v22, v31
	v_add_co_u32 v26, vcc_lo, v138, s28
	v_add_co_ci_u32_e64 v27, null, 0, v139, vcc_lo
	v_add_co_u32 v28, vcc_lo, v136, s28
	v_add_co_ci_u32_e64 v29, null, 0, v137, vcc_lo
	global_load_ushort v26, v[26:27], off
	v_mul_u32_u24_sdwa v30, v19, v233 dst_sel:DWORD dst_unused:UNUSED_PAD src0_sel:WORD_0 src1_sel:DWORD
	v_mul_u32_u24_sdwa v31, v23, v233 dst_sel:DWORD dst_unused:UNUSED_PAD src0_sel:WORD_0 src1_sel:DWORD
	global_load_dword v27, v[28:29], off offset:2
	s_waitcnt vmcnt(1)
	v_mul_u32_u24_e32 v26, 0x10001, v26
	s_waitcnt vmcnt(0)
	v_pk_lshrrev_b16 v28, 8, v27 op_sel:[1,0] op_sel_hi:[0,0]
	v_pk_lshrrev_b16 v27, 8, v27 op_sel:[1,1] op_sel_hi:[0,1]
	v_lshrrev_b32_e32 v29, 16, v28
	v_cvt_f16_i16_sdwa v28, sext(v28) dst_sel:DWORD dst_unused:UNUSED_PAD src0_sel:BYTE_0
	v_cvt_f16_i16_sdwa v29, sext(v29) dst_sel:DWORD dst_unused:UNUSED_PAD src0_sel:BYTE_0
	v_pack_b32_f16 v28, v28, v29
	v_lshrrev_b32_e32 v29, 16, v27
	v_cvt_f16_i16_sdwa v27, sext(v27) dst_sel:DWORD dst_unused:UNUSED_PAD src0_sel:BYTE_0
	v_pk_mul_f16 v28, v28, v26
	v_cvt_f16_i16_sdwa v29, sext(v29) dst_sel:DWORD dst_unused:UNUSED_PAD src0_sel:BYTE_0
	v_pack_b32_f16 v27, v27, v29
	v_pk_mul_f16 v26, v27, v26
	v_pk_fma_f16 v27, v28, v30, v32
	v_pk_fma_f16 v28, v28, v31, v33
	v_pk_fma_f16 v29, v26, v30, v18
	v_add_co_u32 v18, vcc_lo, v134, s28
	v_pk_fma_f16 v26, v26, v31, v22
	v_mul_u32_u24_sdwa v30, v19, v233 dst_sel:DWORD dst_unused:UNUSED_PAD src0_sel:WORD_1 src1_sel:DWORD
	v_add_co_ci_u32_e64 v19, null, 0, v135, vcc_lo
	v_add_co_u32 v22, vcc_lo, v132, s28
	v_mul_u32_u24_sdwa v31, v23, v233 dst_sel:DWORD dst_unused:UNUSED_PAD src0_sel:WORD_1 src1_sel:DWORD
	v_add_co_ci_u32_e64 v23, null, 0, v133, vcc_lo
	global_load_ushort v18, v[18:19], off
	global_load_dword v19, v[22:23], off offset:2
	s_waitcnt vmcnt(1)
	v_mul_u32_u24_e32 v18, 0x10001, v18
	s_waitcnt vmcnt(0)
	v_pk_lshrrev_b16 v22, 8, v19 op_sel:[1,0] op_sel_hi:[0,0]
	v_pk_lshrrev_b16 v19, 8, v19 op_sel:[1,1] op_sel_hi:[0,1]
	v_lshrrev_b32_e32 v23, 16, v22
	v_cvt_f16_i16_sdwa v22, sext(v22) dst_sel:DWORD dst_unused:UNUSED_PAD src0_sel:BYTE_0
	v_cvt_f16_i16_sdwa v23, sext(v23) dst_sel:DWORD dst_unused:UNUSED_PAD src0_sel:BYTE_0
	v_pack_b32_f16 v22, v22, v23
	v_lshrrev_b32_e32 v23, 16, v19
	v_cvt_f16_i16_sdwa v19, sext(v19) dst_sel:DWORD dst_unused:UNUSED_PAD src0_sel:BYTE_0
	v_pk_mul_f16 v22, v22, v18
	v_cvt_f16_i16_sdwa v23, sext(v23) dst_sel:DWORD dst_unused:UNUSED_PAD src0_sel:BYTE_0
	v_pk_fma_f16 v27, v22, v30, v27
	v_pack_b32_f16 v19, v19, v23
	v_pk_fma_f16 v28, v22, v31, v28
	v_pk_mul_f16 v18, v19, v18
	v_pk_fma_f16 v29, v18, v30, v29
	v_pk_fma_f16 v26, v18, v31, v26
	v_add_co_u32 v18, vcc_lo, v130, s28
	v_add_co_ci_u32_e64 v19, null, 0, v131, vcc_lo
	v_add_co_u32 v22, vcc_lo, v128, s28
	v_add_co_ci_u32_e64 v23, null, 0, v129, vcc_lo
	global_load_ushort v18, v[18:19], off
	v_mul_u32_u24_sdwa v30, v20, v233 dst_sel:DWORD dst_unused:UNUSED_PAD src0_sel:WORD_0 src1_sel:DWORD
	v_mul_u32_u24_sdwa v31, v24, v233 dst_sel:DWORD dst_unused:UNUSED_PAD src0_sel:WORD_0 src1_sel:DWORD
	global_load_dword v19, v[22:23], off offset:2
	v_mul_u32_u24_sdwa v20, v20, v233 dst_sel:DWORD dst_unused:UNUSED_PAD src0_sel:WORD_1 src1_sel:DWORD
	v_mul_u32_u24_sdwa v24, v24, v233 dst_sel:DWORD dst_unused:UNUSED_PAD src0_sel:WORD_1 src1_sel:DWORD
	s_waitcnt vmcnt(1)
	v_mul_u32_u24_e32 v18, 0x10001, v18
	s_waitcnt vmcnt(0)
	v_pk_lshrrev_b16 v22, 8, v19 op_sel:[1,0] op_sel_hi:[0,0]
	v_pk_lshrrev_b16 v19, 8, v19 op_sel:[1,1] op_sel_hi:[0,1]
	v_lshrrev_b32_e32 v23, 16, v22
	v_cvt_f16_i16_sdwa v22, sext(v22) dst_sel:DWORD dst_unused:UNUSED_PAD src0_sel:BYTE_0
	v_cvt_f16_i16_sdwa v23, sext(v23) dst_sel:DWORD dst_unused:UNUSED_PAD src0_sel:BYTE_0
	v_pack_b32_f16 v22, v22, v23
	v_lshrrev_b32_e32 v23, 16, v19
	v_cvt_f16_i16_sdwa v19, sext(v19) dst_sel:DWORD dst_unused:UNUSED_PAD src0_sel:BYTE_0
	v_pk_mul_f16 v22, v22, v18
	v_cvt_f16_i16_sdwa v23, sext(v23) dst_sel:DWORD dst_unused:UNUSED_PAD src0_sel:BYTE_0
	v_pk_fma_f16 v27, v22, v30, v27
	v_pack_b32_f16 v19, v19, v23
	v_pk_fma_f16 v28, v22, v31, v28
	v_pk_mul_f16 v18, v19, v18
	v_pk_fma_f16 v29, v18, v30, v29
	v_pk_fma_f16 v26, v18, v31, v26
	v_add_co_u32 v18, vcc_lo, v126, s28
	v_add_co_ci_u32_e64 v19, null, 0, v127, vcc_lo
	v_add_co_u32 v22, vcc_lo, v124, s28
	v_add_co_ci_u32_e64 v23, null, 0, v125, vcc_lo
	global_load_ushort v18, v[18:19], off
	v_mul_u32_u24_sdwa v30, v21, v233 dst_sel:DWORD dst_unused:UNUSED_PAD src0_sel:WORD_0 src1_sel:DWORD
	v_mul_u32_u24_sdwa v31, v25, v233 dst_sel:DWORD dst_unused:UNUSED_PAD src0_sel:WORD_0 src1_sel:DWORD
	global_load_dword v19, v[22:23], off offset:2
	v_mul_u32_u24_sdwa v21, v21, v233 dst_sel:DWORD dst_unused:UNUSED_PAD src0_sel:WORD_1 src1_sel:DWORD
	v_mul_u32_u24_sdwa v25, v25, v233 dst_sel:DWORD dst_unused:UNUSED_PAD src0_sel:WORD_1 src1_sel:DWORD
	s_waitcnt vmcnt(1)
	v_mul_u32_u24_e32 v18, 0x10001, v18
	s_waitcnt vmcnt(0)
	v_pk_lshrrev_b16 v22, 8, v19 op_sel:[1,0] op_sel_hi:[0,0]
	v_pk_lshrrev_b16 v19, 8, v19 op_sel:[1,1] op_sel_hi:[0,1]
	v_lshrrev_b32_e32 v23, 16, v22
	v_cvt_f16_i16_sdwa v22, sext(v22) dst_sel:DWORD dst_unused:UNUSED_PAD src0_sel:BYTE_0
	v_cvt_f16_i16_sdwa v23, sext(v23) dst_sel:DWORD dst_unused:UNUSED_PAD src0_sel:BYTE_0
	v_pack_b32_f16 v22, v22, v23
	v_lshrrev_b32_e32 v23, 16, v19
	v_cvt_f16_i16_sdwa v19, sext(v19) dst_sel:DWORD dst_unused:UNUSED_PAD src0_sel:BYTE_0
	v_pk_mul_f16 v22, v22, v18
	v_cvt_f16_i16_sdwa v23, sext(v23) dst_sel:DWORD dst_unused:UNUSED_PAD src0_sel:BYTE_0
	v_pk_fma_f16 v27, v22, v20, v27
	v_pack_b32_f16 v19, v19, v23
	v_pk_fma_f16 v28, v22, v24, v28
	v_pk_mul_f16 v18, v19, v18
	v_pk_fma_f16 v29, v18, v20, v29
	v_pk_fma_f16 v26, v18, v24, v26
	v_add_co_u32 v18, vcc_lo, v122, s28
	v_add_co_ci_u32_e64 v19, null, 0, v123, vcc_lo
	v_add_co_u32 v22, vcc_lo, v120, s28
	v_add_co_ci_u32_e64 v23, null, 0, v121, vcc_lo
	global_load_ushort v18, v[18:19], off
	global_load_dword v19, v[22:23], off offset:2
	s_waitcnt vmcnt(1)
	v_mul_u32_u24_e32 v18, 0x10001, v18
	s_waitcnt vmcnt(0)
	v_pk_lshrrev_b16 v20, 8, v19 op_sel:[1,0] op_sel_hi:[0,0]
	v_pk_lshrrev_b16 v19, 8, v19 op_sel:[1,1] op_sel_hi:[0,1]
	v_lshrrev_b32_e32 v22, 16, v20
	v_cvt_f16_i16_sdwa v20, sext(v20) dst_sel:DWORD dst_unused:UNUSED_PAD src0_sel:BYTE_0
	v_cvt_f16_i16_sdwa v22, sext(v22) dst_sel:DWORD dst_unused:UNUSED_PAD src0_sel:BYTE_0
	v_pack_b32_f16 v20, v20, v22
	v_pk_mul_f16 v22, v20, v18
	v_lshrrev_b32_e32 v20, 16, v19
	v_cvt_f16_i16_sdwa v19, sext(v19) dst_sel:DWORD dst_unused:UNUSED_PAD src0_sel:BYTE_0
	v_pk_fma_f16 v24, v22, v31, v28
	v_cvt_f16_i16_sdwa v20, sext(v20) dst_sel:DWORD dst_unused:UNUSED_PAD src0_sel:BYTE_0
	v_pack_b32_f16 v19, v19, v20
	v_pk_fma_f16 v20, v22, v30, v27
	v_pk_mul_f16 v18, v19, v18
	v_pk_fma_f16 v22, v18, v30, v29
	v_pk_fma_f16 v23, v18, v31, v26
	v_add_co_u32 v18, vcc_lo, v118, s28
	v_add_co_ci_u32_e64 v19, null, 0, v119, vcc_lo
	v_add_co_u32 v26, vcc_lo, v116, s28
	v_add_co_ci_u32_e64 v27, null, 0, v117, vcc_lo
	global_load_ushort v18, v[18:19], off
	v_add_co_u32 v90, vcc_lo, v90, s3
	global_load_dword v19, v[26:27], off offset:2
	v_add_co_ci_u32_e64 v91, null, 0, v91, vcc_lo
	v_add_co_u32 v80, vcc_lo, v80, s8
	v_add_co_ci_u32_e64 v81, null, s9, v81, vcc_lo
	v_add_co_u32 v92, vcc_lo, v92, s8
	;; [unrolled: 2-line block ×70, first 2 shown]
	v_add_co_ci_u32_e64 v229, null, 0, v229, vcc_lo
	s_waitcnt vmcnt(1)
	v_mul_u32_u24_e32 v18, 0x10001, v18
	s_waitcnt vmcnt(0)
	v_pk_lshrrev_b16 v26, 8, v19 op_sel:[1,0] op_sel_hi:[0,0]
	v_pk_lshrrev_b16 v19, 8, v19 op_sel:[1,1] op_sel_hi:[0,1]
	v_lshrrev_b32_e32 v27, 16, v26
	v_cvt_f16_i16_sdwa v26, sext(v26) dst_sel:DWORD dst_unused:UNUSED_PAD src0_sel:BYTE_0
	v_cvt_f16_i16_sdwa v27, sext(v27) dst_sel:DWORD dst_unused:UNUSED_PAD src0_sel:BYTE_0
	v_pack_b32_f16 v26, v26, v27
	v_lshrrev_b32_e32 v27, 16, v19
	v_cvt_f16_i16_sdwa v19, sext(v19) dst_sel:DWORD dst_unused:UNUSED_PAD src0_sel:BYTE_0
	v_pk_mul_f16 v26, v26, v18
	v_cvt_f16_i16_sdwa v27, sext(v27) dst_sel:DWORD dst_unused:UNUSED_PAD src0_sel:BYTE_0
	v_pack_b32_f16 v19, v19, v27
	v_pk_mul_f16 v27, v19, v18
	v_pk_fma_f16 v18, v26, v21, v20
	v_pk_fma_f16 v20, v26, v25, v24
	;; [unrolled: 1-line block ×4, first 2 shown]
	s_cbranch_scc1 .LBB22_44
; %bb.42:                               ;   in Loop: Header=BB22_17 Depth=1
	v_mov_b32_e32 v27, v70
	v_mov_b32_e32 v26, v71
	s_branch .LBB22_17
.LBB22_43:
	v_mov_b32_e32 v70, 0xfeffffff
	v_mov_b32_e32 v83, 0
	;; [unrolled: 1-line block ×4, first 2 shown]
	s_branch .LBB22_45
.LBB22_44:
	ds_write_b128 v76, v[18:21]
.LBB22_45:
	s_cmp_eq_u64 s[20:21], 0
	s_cselect_b32 s1, -1, 0
	s_cmp_lg_u32 s34, 0
	s_cselect_b32 s2, -1, 0
	s_or_b32 s1, s2, s1
	s_nor_b32 s0, s1, s0
	s_and_saveexec_b32 s1, s0
	s_cbranch_execz .LBB22_47
; %bb.46:
	s_ashr_i32 s39, s38, 31
	v_cmp_eq_u32_e32 vcc_lo, 1, v1
	s_lshl_b64 s[2:3], s[38:39], 2
	s_add_u32 s2, s20, s2
	s_addc_u32 s3, s21, s3
	v_cndmask_b32_e32 v2, v70, v71, vcc_lo
	s_load_dword s0, s[2:3], 0x0
	v_max_f32_e32 v3, v2, v2
	s_waitcnt lgkmcnt(0)
	v_max_f32_e64 v4, s0, s0
	v_max_f32_e32 v4, v4, v3
	v_sub_f32_e32 v5, s0, v4
	v_sub_f32_e32 v6, v2, v4
	v_cndmask_b32_e32 v71, v71, v4, vcc_lo
	v_mul_f32_e32 v2, 0x3fb8aa3b, v5
	v_mul_f32_e32 v3, 0x3fb8aa3b, v6
	v_cmp_ngt_f32_e64 s0, 0xc2ce8ed0, v5
	v_fma_f32 v7, 0x3fb8aa3b, v5, -v2
	v_rndne_f32_e32 v8, v2
	v_fma_f32 v9, 0x3fb8aa3b, v6, -v3
	v_rndne_f32_e32 v10, v3
	v_fmac_f32_e32 v7, 0x32a5705f, v5
	v_sub_f32_e32 v2, v2, v8
	v_fmac_f32_e32 v9, 0x32a5705f, v6
	v_sub_f32_e32 v3, v3, v10
	v_add_f32_e32 v2, v2, v7
	v_cvt_i32_f32_e32 v7, v8
	v_add_f32_e32 v3, v3, v9
	v_cvt_i32_f32_e32 v8, v10
	v_lshl_add_u32 v9, v1, 3, v76
	v_exp_f32_e32 v2, v2
	v_exp_f32_e32 v3, v3
	v_ldexp_f32 v7, v2, v7
	v_ldexp_f32 v8, v3, v8
	ds_read_b64 v[2:3], v9
	v_cndmask_b32_e64 v7, 0, v7, s0
	v_cmp_ngt_f32_e64 s0, 0xc2ce8ed0, v6
	v_cndmask_b32_e64 v8, 0, v8, s0
	v_cmp_nlt_f32_e64 s0, 0x42b17218, v5
	v_cndmask_b32_e64 v5, 0x7f800000, v7, s0
	v_cmp_nlt_f32_e64 s0, 0x42b17218, v6
	v_mov_b32_e32 v7, 0x10001
	v_cndmask_b32_e64 v6, 0x7f800000, v8, s0
	v_cmp_eq_u32_e64 s0, 0, v0
	v_cndmask_b32_e32 v8, v83, v82, vcc_lo
	v_cvt_f16_f32_e32 v10, v6
	v_cndmask_b32_e64 v5, 0, v5, s0
	v_cmp_eq_u32_e64 s0, 0, v1
	v_fmac_f32_e32 v5, v8, v6
	v_mul_u32_u24_sdwa v6, v10, v7 dst_sel:DWORD dst_unused:UNUSED_PAD src0_sel:WORD_0 src1_sel:DWORD
	v_cndmask_b32_e64 v70, v70, v4, s0
	v_cndmask_b32_e32 v82, v82, v5, vcc_lo
	s_waitcnt lgkmcnt(0)
	v_pk_mul_f16 v2, v2, v6
	v_pk_mul_f16 v3, v3, v6
	v_cndmask_b32_e64 v83, v83, v5, s0
	ds_write_b64 v9, v[2:3]
.LBB22_47:
	s_or_b32 exec_lo, exec_lo, s1
	v_add_nc_u32_e32 v4, 0x500, v74
	v_or_b32_e32 v10, 0x400, v74
	s_mov_b32 s0, exec_lo
	v_cmpx_eq_u32_e32 0, v1
	s_cbranch_execz .LBB22_49
; %bb.48:
	v_mov_b32_e32 v2, 0xfeffffff
	v_mov_b32_e32 v3, 0
	ds_write2_b32 v10, v2, v2 offset1:32
	ds_write2_b32 v4, v3, v3 offset1:32
.LBB22_49:
	s_or_b32 exec_lo, exec_lo, s0
	v_cmp_eq_u32_e64 s0, 0, v0
	s_waitcnt lgkmcnt(0)
	s_barrier
	buffer_gl0_inv
	s_and_saveexec_b32 s1, s0
; %bb.50:
	v_lshlrev_b32_e32 v2, 2, v1
	v_add_nc_u32_e32 v2, 0x400, v2
	ds_write2_b32 v2, v70, v71 offset1:32
; %bb.51:
	s_or_b32 exec_lo, exec_lo, s1
	s_cmp_lt_i32 s30, s36
	s_waitcnt lgkmcnt(0)
	s_barrier
	buffer_gl0_inv
	s_cbranch_scc1 .LBB22_53
; %bb.52:
	s_load_dword s2, s[6:7], 0xd4
	s_cbranch_execz .LBB22_54
	s_branch .LBB22_61
.LBB22_53:
                                        ; implicit-def: $sgpr2
.LBB22_54:
	ds_read_b32 v2, v10
	v_xor_b32_e32 v3, 16, v78
	v_xor_b32_e32 v6, 8, v78
	;; [unrolled: 1-line block ×5, first 2 shown]
	v_cmp_gt_i32_e32 vcc_lo, 32, v3
	s_waitcnt lgkmcnt(0)
	s_load_dword s2, s[6:7], 0xd4
	v_mov_b32_e32 v15, 0x10001
	v_lshl_add_u32 v1, v1, 2, 0x500
	v_cndmask_b32_e32 v3, v78, v3, vcc_lo
	v_cmp_gt_i32_e32 vcc_lo, 32, v6
	v_lshlrev_b32_e32 v5, 2, v3
	v_cndmask_b32_e32 v6, v78, v6, vcc_lo
	v_cmp_gt_i32_e32 vcc_lo, 32, v7
	ds_bpermute_b32 v3, v5, v2
	v_max_f32_e32 v2, v2, v2
	v_lshlrev_b32_e32 v6, 2, v6
	v_cndmask_b32_e32 v7, v78, v7, vcc_lo
	v_cmp_gt_i32_e32 vcc_lo, 32, v8
	v_lshlrev_b32_e32 v7, 2, v7
	v_cndmask_b32_e32 v8, v78, v8, vcc_lo
	v_cmp_gt_i32_e32 vcc_lo, 32, v9
	v_lshlrev_b32_e32 v8, 2, v8
	v_cndmask_b32_e32 v9, v78, v9, vcc_lo
	v_lshlrev_b32_e32 v9, 2, v9
	s_waitcnt lgkmcnt(0)
	v_max_f32_e32 v3, v3, v3
	v_max_f32_e32 v2, v2, v3
	ds_bpermute_b32 v3, v6, v2
	s_waitcnt lgkmcnt(0)
	v_max_f32_e32 v3, v3, v3
	v_max_f32_e32 v2, v2, v3
	ds_bpermute_b32 v3, v7, v2
	;; [unrolled: 4-line block ×4, first 2 shown]
	s_waitcnt lgkmcnt(0)
	v_max_f32_e32 v3, v3, v3
	v_max_f32_e32 v2, v2, v3
	v_sub_f32_e32 v3, v70, v2
	v_mul_f32_e32 v11, 0x3fb8aa3b, v3
	v_cmp_ngt_f32_e32 vcc_lo, 0xc2ce8ed0, v3
	v_fma_f32 v12, 0x3fb8aa3b, v3, -v11
	v_rndne_f32_e32 v13, v11
	v_fmamk_f32 v12, v3, 0x32a5705f, v12
	v_sub_f32_e32 v11, v11, v13
	v_add_f32_e32 v11, v11, v12
	v_cvt_i32_f32_e32 v12, v13
	ds_read_b64 v[13:14], v76
	v_exp_f32_e32 v11, v11
	v_ldexp_f32 v11, v11, v12
	v_cndmask_b32_e32 v11, 0, v11, vcc_lo
	v_cmp_nlt_f32_e32 vcc_lo, 0x42b17218, v3
	v_cndmask_b32_e32 v11, 0x7f800000, v11, vcc_lo
	v_mul_f32_e32 v3, v83, v11
	ds_bpermute_b32 v3, v5, v3
	s_waitcnt lgkmcnt(0)
	v_fmac_f32_e32 v3, v83, v11
	v_cvt_f16_f32_e32 v11, v11
	ds_bpermute_b32 v12, v6, v3
	v_mul_u32_u24_sdwa v11, v11, v15 dst_sel:DWORD dst_unused:UNUSED_PAD src0_sel:WORD_0 src1_sel:DWORD
	v_lshlrev_b32_e32 v15, 3, v0
	v_pk_mul_f16 v13, v13, v11
	v_pk_mul_f16 v14, v14, v11
	v_add_nc_u32_e32 v11, v72, v15
	ds_write_b64 v76, v[13:14]
	ds_write_b64 v11, v[13:14]
	s_waitcnt lgkmcnt(2)
	v_add_f32_e32 v3, v3, v12
	ds_bpermute_b32 v12, v7, v3
	s_waitcnt lgkmcnt(0)
	v_add_f32_e32 v3, v3, v12
	ds_bpermute_b32 v12, v8, v3
	;; [unrolled: 3-line block ×3, first 2 shown]
	s_and_saveexec_b32 s1, s0
	s_cbranch_execz .LBB22_56
; %bb.55:
	s_waitcnt lgkmcnt(0)
	v_add_f32_e32 v3, v3, v12
	ds_write_b32 v1, v3
.LBB22_56:
	s_or_b32 exec_lo, exec_lo, s1
	s_waitcnt lgkmcnt(0)
	s_barrier
	buffer_gl0_inv
	ds_read_b32 v3, v4
	ds_read_u16 v12, v75
	ds_read_u16 v13, v75 offset:256
	ds_read_u16 v14, v75 offset:512
	;; [unrolled: 1-line block ×3, first 2 shown]
	s_cmp_eq_u32 s2, 1
	s_mul_i32 s3, s33, s36
	s_cselect_b32 s1, -1, 0
	s_add_i32 s3, s30, s3
	s_mul_i32 s3, s3, s37
	s_add_i32 s3, s3, s38
	s_mul_i32 s4, s2, s3
	s_add_i32 s4, s4, s34
	s_waitcnt lgkmcnt(4)
	ds_bpermute_b32 v16, v5, v3
	s_waitcnt lgkmcnt(4)
	v_cvt_f32_f16_e32 v12, v12
	s_waitcnt lgkmcnt(3)
	v_cvt_f32_f16_e32 v13, v13
	;; [unrolled: 2-line block ×3, first 2 shown]
	v_add_f32_e32 v12, 0, v12
	v_add_f32_e32 v12, v12, v13
	s_waitcnt lgkmcnt(1)
	v_cvt_f32_f16_e32 v13, v15
	v_add_f32_e32 v12, v12, v14
	s_waitcnt lgkmcnt(0)
	v_add_f32_e32 v3, v3, v16
	v_add_f32_e32 v14, v12, v13
	ds_bpermute_b32 v16, v6, v3
	s_waitcnt lgkmcnt(0)
	v_add_f32_e32 v3, v3, v16
	ds_bpermute_b32 v16, v7, v3
	s_waitcnt lgkmcnt(0)
	;; [unrolled: 3-line block ×4, first 2 shown]
	v_add_f32_e32 v83, v3, v16
	v_div_scale_f32 v3, null, v83, v83, v14
	v_div_scale_f32 v15, vcc_lo, v14, v83, v14
	v_rcp_f32_e32 v12, v3
	v_fma_f32 v13, -v3, v12, 1.0
	v_fmac_f32_e32 v12, v13, v12
	v_mul_f32_e32 v13, v15, v12
	v_fma_f32 v16, -v3, v13, v15
	v_fmac_f32_e32 v13, v16, v12
	v_fma_f32 v3, -v3, v13, v15
	v_div_fmas_f32 v3, v3, v12, v13
	v_mov_b32_e32 v13, 0
	v_lshl_or_b32 v12, s4, 7, v73
	s_or_b32 s4, s30, 1
	v_div_fixup_f32 v3, v3, v83, v14
	s_cmp_ge_i32 s4, s36
	v_lshlrev_b64 v[12:13], 2, v[12:13]
	v_cndmask_b32_e64 v14, v14, v3, s1
	v_mov_b32_e32 v3, v71
	v_add_co_u32 v12, vcc_lo, s24, v12
	v_add_co_ci_u32_e64 v13, null, s25, v13, vcc_lo
	global_store_dword v[12:13], v14, off
	s_waitcnt_vscnt null, 0x0
	s_barrier
	buffer_gl0_inv
	s_cbranch_scc1 .LBB22_60
; %bb.57:
	ds_read_b32 v3, v10 offset:128
	v_mov_b32_e32 v16, 0x10001
	s_waitcnt lgkmcnt(0)
	ds_bpermute_b32 v10, v5, v3
	v_max_f32_e32 v3, v3, v3
	s_waitcnt lgkmcnt(0)
	v_max_f32_e32 v10, v10, v10
	v_max_f32_e32 v3, v3, v10
	ds_bpermute_b32 v10, v6, v3
	s_waitcnt lgkmcnt(0)
	v_max_f32_e32 v10, v10, v10
	v_max_f32_e32 v3, v3, v10
	ds_bpermute_b32 v10, v7, v3
	;; [unrolled: 4-line block ×4, first 2 shown]
	s_waitcnt lgkmcnt(0)
	v_max_f32_e32 v10, v10, v10
	v_max_f32_e32 v3, v3, v10
	v_sub_f32_e32 v10, v71, v3
	v_mul_f32_e32 v12, 0x3fb8aa3b, v10
	v_cmp_ngt_f32_e32 vcc_lo, 0xc2ce8ed0, v10
	v_fma_f32 v13, 0x3fb8aa3b, v10, -v12
	v_rndne_f32_e32 v14, v12
	v_fmamk_f32 v13, v10, 0x32a5705f, v13
	v_sub_f32_e32 v12, v12, v14
	v_add_f32_e32 v12, v12, v13
	v_cvt_i32_f32_e32 v13, v14
	v_exp_f32_e32 v12, v12
	v_ldexp_f32 v12, v12, v13
	ds_read_b64 v[13:14], v76 offset:8
	v_cndmask_b32_e32 v12, 0, v12, vcc_lo
	v_cmp_nlt_f32_e32 vcc_lo, 0x42b17218, v10
	v_cndmask_b32_e32 v15, 0x7f800000, v12, vcc_lo
	v_mul_f32_e32 v10, v82, v15
	ds_bpermute_b32 v10, v5, v10
	s_waitcnt lgkmcnt(0)
	v_fmac_f32_e32 v10, v82, v15
	v_cvt_f16_f32_e32 v15, v15
	ds_bpermute_b32 v12, v6, v10
	v_mul_u32_u24_sdwa v15, v15, v16 dst_sel:DWORD dst_unused:UNUSED_PAD src0_sel:WORD_0 src1_sel:DWORD
	v_pk_mul_f16 v13, v13, v15
	v_pk_mul_f16 v14, v14, v15
	ds_write_b64 v76, v[13:14] offset:8
	ds_write_b64 v11, v[13:14]
	s_waitcnt lgkmcnt(2)
	v_add_f32_e32 v10, v10, v12
	ds_bpermute_b32 v12, v7, v10
	s_waitcnt lgkmcnt(0)
	v_add_f32_e32 v10, v10, v12
	ds_bpermute_b32 v12, v8, v10
	;; [unrolled: 3-line block ×3, first 2 shown]
	s_and_saveexec_b32 s4, s0
	s_cbranch_execz .LBB22_59
; %bb.58:
	s_waitcnt lgkmcnt(0)
	v_add_f32_e32 v10, v10, v12
	ds_write_b32 v1, v10 offset:128
.LBB22_59:
	s_or_b32 exec_lo, exec_lo, s4
	s_waitcnt lgkmcnt(0)
	s_barrier
	buffer_gl0_inv
	ds_read_b32 v1, v4 offset:128
	ds_read_u16 v4, v75
	ds_read_u16 v10, v75 offset:256
	ds_read_u16 v11, v75 offset:512
	;; [unrolled: 1-line block ×3, first 2 shown]
	s_add_i32 s3, s3, s37
	s_mul_i32 s0, s2, s3
	s_add_i32 s0, s0, s34
	s_waitcnt lgkmcnt(4)
	ds_bpermute_b32 v5, v5, v1
	s_waitcnt lgkmcnt(4)
	v_cvt_f32_f16_e32 v4, v4
	v_add_f32_e32 v4, 0, v4
	s_waitcnt lgkmcnt(0)
	v_add_f32_e32 v1, v1, v5
	ds_bpermute_b32 v5, v6, v1
	v_cvt_f32_f16_e32 v6, v10
	v_add_f32_e32 v4, v4, v6
	v_cvt_f32_f16_e32 v6, v12
	s_waitcnt lgkmcnt(0)
	v_add_f32_e32 v1, v1, v5
	ds_bpermute_b32 v5, v7, v1
	v_cvt_f32_f16_e32 v7, v11
	v_add_f32_e32 v4, v4, v7
	v_add_f32_e32 v6, v4, v6
	s_waitcnt lgkmcnt(0)
	v_add_f32_e32 v1, v1, v5
	ds_bpermute_b32 v5, v8, v1
	s_waitcnt lgkmcnt(0)
	v_add_f32_e32 v1, v1, v5
	ds_bpermute_b32 v5, v9, v1
	s_waitcnt lgkmcnt(0)
	v_add_f32_e32 v82, v1, v5
	v_div_scale_f32 v1, null, v82, v82, v6
	v_div_scale_f32 v5, vcc_lo, v6, v82, v6
	v_rcp_f32_e32 v7, v1
	v_fma_f32 v4, -v1, v7, 1.0
	v_fmac_f32_e32 v7, v4, v7
	v_mul_f32_e32 v8, v5, v7
	v_fma_f32 v4, -v1, v8, v5
	v_fmac_f32_e32 v8, v4, v7
	v_lshl_or_b32 v4, s0, 7, v73
	v_fma_f32 v1, -v1, v8, v5
	v_mov_b32_e32 v5, 0
	v_div_fmas_f32 v1, v1, v7, v8
	v_lshlrev_b64 v[4:5], 2, v[4:5]
	v_div_fixup_f32 v1, v1, v82, v6
	v_add_co_u32 v4, vcc_lo, s24, v4
	v_add_co_ci_u32_e64 v5, null, s25, v5, vcc_lo
	v_cndmask_b32_e64 v1, v6, v1, s1
	global_store_dword v[4:5], v1, off
.LBB22_60:
	v_mov_b32_e32 v71, v3
	v_mov_b32_e32 v70, v2
.LBB22_61:
	v_or_b32_e32 v0, s30, v0
	v_cmp_gt_u32_e32 vcc_lo, 2, v73
	s_waitcnt lgkmcnt(0)
	s_cmp_lg_u32 s2, 1
	s_cselect_b32 s1, -1, 0
	v_cmp_gt_i32_e64 s0, s36, v0
	s_and_b32 s1, s1, vcc_lo
	s_and_b32 s0, s1, s0
	s_and_saveexec_b32 s1, s0
	s_cbranch_execz .LBB22_63
; %bb.62:
	v_mad_u64_u32 v[0:1], null, s33, s36, v[0:1]
	v_cmp_eq_u32_e32 vcc_lo, 1, v73
	v_cndmask_b32_e32 v2, v70, v71, vcc_lo
	v_mad_u64_u32 v[0:1], null, v0, s37, s[38:39]
	v_cndmask_b32_e32 v3, v83, v82, vcc_lo
	v_mad_u64_u32 v[0:1], null, s2, v0, s[34:35]
	v_mov_b32_e32 v1, 0
	v_lshlrev_b64 v[0:1], 3, v[0:1]
	v_add_co_u32 v0, vcc_lo, s26, v0
	v_add_co_ci_u32_e64 v1, null, s27, v1, vcc_lo
	global_store_dwordx2 v[0:1], v[2:3], off
.LBB22_63:
	s_endpgm
	.section	.rodata,"a",@progbits
	.p2align	6, 0x0
	.amdhsa_kernel _ZL18flash_attn_ext_vecILi128ELi2EL9ggml_type7ELS0_8ELb1EEvPKcS2_S2_S2_S2_PKiPfP15HIP_vector_typeIfLj2EEffffjfiS6_IjLj3EEiiiiiiiiiiiliiliiiiil
		.amdhsa_group_segment_fixed_size 3584
		.amdhsa_private_segment_fixed_size 0
		.amdhsa_kernarg_size 464
		.amdhsa_user_sgpr_count 8
		.amdhsa_user_sgpr_private_segment_buffer 1
		.amdhsa_user_sgpr_dispatch_ptr 1
		.amdhsa_user_sgpr_queue_ptr 0
		.amdhsa_user_sgpr_kernarg_segment_ptr 1
		.amdhsa_user_sgpr_dispatch_id 0
		.amdhsa_user_sgpr_flat_scratch_init 0
		.amdhsa_user_sgpr_private_segment_size 0
		.amdhsa_wavefront_size32 1
		.amdhsa_uses_dynamic_stack 0
		.amdhsa_system_sgpr_private_segment_wavefront_offset 0
		.amdhsa_system_sgpr_workgroup_id_x 1
		.amdhsa_system_sgpr_workgroup_id_y 1
		.amdhsa_system_sgpr_workgroup_id_z 1
		.amdhsa_system_sgpr_workgroup_info 0
		.amdhsa_system_vgpr_workitem_id 2
		.amdhsa_next_free_vgpr 250
		.amdhsa_next_free_sgpr 52
		.amdhsa_reserve_vcc 1
		.amdhsa_reserve_flat_scratch 0
		.amdhsa_float_round_mode_32 0
		.amdhsa_float_round_mode_16_64 0
		.amdhsa_float_denorm_mode_32 3
		.amdhsa_float_denorm_mode_16_64 3
		.amdhsa_dx10_clamp 1
		.amdhsa_ieee_mode 1
		.amdhsa_fp16_overflow 0
		.amdhsa_workgroup_processor_mode 1
		.amdhsa_memory_ordered 1
		.amdhsa_forward_progress 1
		.amdhsa_shared_vgpr_count 0
		.amdhsa_exception_fp_ieee_invalid_op 0
		.amdhsa_exception_fp_denorm_src 0
		.amdhsa_exception_fp_ieee_div_zero 0
		.amdhsa_exception_fp_ieee_overflow 0
		.amdhsa_exception_fp_ieee_underflow 0
		.amdhsa_exception_fp_ieee_inexact 0
		.amdhsa_exception_int_div_zero 0
	.end_amdhsa_kernel
	.section	.text._ZL18flash_attn_ext_vecILi128ELi2EL9ggml_type7ELS0_8ELb1EEvPKcS2_S2_S2_S2_PKiPfP15HIP_vector_typeIfLj2EEffffjfiS6_IjLj3EEiiiiiiiiiiiliiliiiiil,"axG",@progbits,_ZL18flash_attn_ext_vecILi128ELi2EL9ggml_type7ELS0_8ELb1EEvPKcS2_S2_S2_S2_PKiPfP15HIP_vector_typeIfLj2EEffffjfiS6_IjLj3EEiiiiiiiiiiiliiliiiiil,comdat
.Lfunc_end22:
	.size	_ZL18flash_attn_ext_vecILi128ELi2EL9ggml_type7ELS0_8ELb1EEvPKcS2_S2_S2_S2_PKiPfP15HIP_vector_typeIfLj2EEffffjfiS6_IjLj3EEiiiiiiiiiiiliiliiiiil, .Lfunc_end22-_ZL18flash_attn_ext_vecILi128ELi2EL9ggml_type7ELS0_8ELb1EEvPKcS2_S2_S2_S2_PKiPfP15HIP_vector_typeIfLj2EEffffjfiS6_IjLj3EEiiiiiiiiiiiliiliiiiil
                                        ; -- End function
	.set _ZL18flash_attn_ext_vecILi128ELi2EL9ggml_type7ELS0_8ELb1EEvPKcS2_S2_S2_S2_PKiPfP15HIP_vector_typeIfLj2EEffffjfiS6_IjLj3EEiiiiiiiiiiiliiliiiiil.num_vgpr, 250
	.set _ZL18flash_attn_ext_vecILi128ELi2EL9ggml_type7ELS0_8ELb1EEvPKcS2_S2_S2_S2_PKiPfP15HIP_vector_typeIfLj2EEffffjfiS6_IjLj3EEiiiiiiiiiiiliiliiiiil.num_agpr, 0
	.set _ZL18flash_attn_ext_vecILi128ELi2EL9ggml_type7ELS0_8ELb1EEvPKcS2_S2_S2_S2_PKiPfP15HIP_vector_typeIfLj2EEffffjfiS6_IjLj3EEiiiiiiiiiiiliiliiiiil.numbered_sgpr, 52
	.set _ZL18flash_attn_ext_vecILi128ELi2EL9ggml_type7ELS0_8ELb1EEvPKcS2_S2_S2_S2_PKiPfP15HIP_vector_typeIfLj2EEffffjfiS6_IjLj3EEiiiiiiiiiiiliiliiiiil.num_named_barrier, 0
	.set _ZL18flash_attn_ext_vecILi128ELi2EL9ggml_type7ELS0_8ELb1EEvPKcS2_S2_S2_S2_PKiPfP15HIP_vector_typeIfLj2EEffffjfiS6_IjLj3EEiiiiiiiiiiiliiliiiiil.private_seg_size, 0
	.set _ZL18flash_attn_ext_vecILi128ELi2EL9ggml_type7ELS0_8ELb1EEvPKcS2_S2_S2_S2_PKiPfP15HIP_vector_typeIfLj2EEffffjfiS6_IjLj3EEiiiiiiiiiiiliiliiiiil.uses_vcc, 1
	.set _ZL18flash_attn_ext_vecILi128ELi2EL9ggml_type7ELS0_8ELb1EEvPKcS2_S2_S2_S2_PKiPfP15HIP_vector_typeIfLj2EEffffjfiS6_IjLj3EEiiiiiiiiiiiliiliiiiil.uses_flat_scratch, 0
	.set _ZL18flash_attn_ext_vecILi128ELi2EL9ggml_type7ELS0_8ELb1EEvPKcS2_S2_S2_S2_PKiPfP15HIP_vector_typeIfLj2EEffffjfiS6_IjLj3EEiiiiiiiiiiiliiliiiiil.has_dyn_sized_stack, 0
	.set _ZL18flash_attn_ext_vecILi128ELi2EL9ggml_type7ELS0_8ELb1EEvPKcS2_S2_S2_S2_PKiPfP15HIP_vector_typeIfLj2EEffffjfiS6_IjLj3EEiiiiiiiiiiiliiliiiiil.has_recursion, 0
	.set _ZL18flash_attn_ext_vecILi128ELi2EL9ggml_type7ELS0_8ELb1EEvPKcS2_S2_S2_S2_PKiPfP15HIP_vector_typeIfLj2EEffffjfiS6_IjLj3EEiiiiiiiiiiiliiliiiiil.has_indirect_call, 0
	.section	.AMDGPU.csdata,"",@progbits
; Kernel info:
; codeLenInByte = 22332
; TotalNumSgprs: 54
; NumVgprs: 250
; ScratchSize: 0
; MemoryBound: 0
; FloatMode: 240
; IeeeMode: 1
; LDSByteSize: 3584 bytes/workgroup (compile time only)
; SGPRBlocks: 0
; VGPRBlocks: 31
; NumSGPRsForWavesPerEU: 54
; NumVGPRsForWavesPerEU: 250
; Occupancy: 4
; WaveLimiterHint : 0
; COMPUTE_PGM_RSRC2:SCRATCH_EN: 0
; COMPUTE_PGM_RSRC2:USER_SGPR: 8
; COMPUTE_PGM_RSRC2:TRAP_HANDLER: 0
; COMPUTE_PGM_RSRC2:TGID_X_EN: 1
; COMPUTE_PGM_RSRC2:TGID_Y_EN: 1
; COMPUTE_PGM_RSRC2:TGID_Z_EN: 1
; COMPUTE_PGM_RSRC2:TIDIG_COMP_CNT: 2
	.section	.text._ZL18flash_attn_ext_vecILi256ELi1EL9ggml_type7ELS0_8ELb0EEvPKcS2_S2_S2_S2_PKiPfP15HIP_vector_typeIfLj2EEffffjfiS6_IjLj3EEiiiiiiiiiiiliiliiiiil,"axG",@progbits,_ZL18flash_attn_ext_vecILi256ELi1EL9ggml_type7ELS0_8ELb0EEvPKcS2_S2_S2_S2_PKiPfP15HIP_vector_typeIfLj2EEffffjfiS6_IjLj3EEiiiiiiiiiiiliiliiiiil,comdat
	.globl	_ZL18flash_attn_ext_vecILi256ELi1EL9ggml_type7ELS0_8ELb0EEvPKcS2_S2_S2_S2_PKiPfP15HIP_vector_typeIfLj2EEffffjfiS6_IjLj3EEiiiiiiiiiiiliiliiiiil ; -- Begin function _ZL18flash_attn_ext_vecILi256ELi1EL9ggml_type7ELS0_8ELb0EEvPKcS2_S2_S2_S2_PKiPfP15HIP_vector_typeIfLj2EEffffjfiS6_IjLj3EEiiiiiiiiiiiliiliiiiil
	.p2align	8
	.type	_ZL18flash_attn_ext_vecILi256ELi1EL9ggml_type7ELS0_8ELb0EEvPKcS2_S2_S2_S2_PKiPfP15HIP_vector_typeIfLj2EEffffjfiS6_IjLj3EEiiiiiiiiiiiliiliiiiil,@function
_ZL18flash_attn_ext_vecILi256ELi1EL9ggml_type7ELS0_8ELb0EEvPKcS2_S2_S2_S2_PKiPfP15HIP_vector_typeIfLj2EEffffjfiS6_IjLj3EEiiiiiiiiiiiliiliiiiil: ; @_ZL18flash_attn_ext_vecILi256ELi1EL9ggml_type7ELS0_8ELb0EEvPKcS2_S2_S2_S2_PKiPfP15HIP_vector_typeIfLj2EEffffjfiS6_IjLj3EEiiiiiiiiiiiliiliiiiil
; %bb.0:
	s_clause 0x3
	s_load_dwordx2 s[28:29], s[4:5], 0x64
	s_load_dwordx2 s[34:35], s[4:5], 0x80
	;; [unrolled: 1-line block ×3, first 2 shown]
	s_load_dwordx4 s[24:27], s[4:5], 0x40
	v_mov_b32_e32 v67, 1.0
	s_waitcnt lgkmcnt(0)
	v_cvt_f32_u32_e32 v2, s29
	s_sub_i32 s1, 0, s29
	v_rcp_iflag_f32_e32 v2, v2
	v_mul_f32_e32 v2, 0x4f7ffffe, v2
	v_cvt_u32_f32_e32 v2, v2
	v_readfirstlane_b32 s0, v2
	s_mul_i32 s1, s1, s0
	s_mul_hi_u32 s1, s0, s1
	s_add_i32 s0, s0, s1
	s_mul_hi_u32 s0, s8, s0
	s_mul_i32 s1, s0, s29
	s_add_i32 s2, s0, 1
	s_sub_i32 s1, s8, s1
	s_sub_i32 s3, s1, s29
	s_cmp_ge_u32 s1, s29
	s_cselect_b32 s0, s2, s0
	s_cselect_b32 s1, s3, s1
	s_add_i32 s2, s0, 1
	s_cmp_ge_u32 s1, s29
	s_cselect_b32 s33, s2, s0
	s_abs_i32 s0, s35
	s_abs_i32 s9, s29
	v_cvt_f32_u32_e32 v2, s0
	s_sub_i32 s2, 0, s0
	s_xor_b32 s3, s29, s35
	s_ashr_i32 s3, s3, 31
	v_rcp_iflag_f32_e32 v2, v2
	v_mul_f32_e32 v2, 0x4f7ffffe, v2
	v_cvt_u32_f32_e32 v2, v2
	v_readfirstlane_b32 s1, v2
	s_mul_i32 s2, s2, s1
	s_mul_hi_u32 s2, s1, s2
	s_add_i32 s1, s1, s2
	s_mul_i32 s2, s33, s29
	s_mul_hi_u32 s1, s9, s1
	s_sub_i32 s30, s8, s2
	s_mul_i32 s10, s1, s0
	s_add_i32 s8, s1, 1
	s_sub_i32 s2, s9, s10
	s_sub_i32 s9, s2, s0
	s_cmp_ge_u32 s2, s0
	s_cselect_b32 s1, s8, s1
	s_cselect_b32 s2, s9, s2
	s_add_i32 s8, s1, 1
	s_cmp_ge_u32 s2, s0
	s_cselect_b32 s0, s8, s1
	s_abs_i32 s35, s36
	s_xor_b32 s0, s0, s3
	v_cvt_f32_u32_e32 v2, s35
	s_sub_i32 s38, s0, s3
	s_load_dword s0, s[4:5], 0x50
	s_abs_i32 s41, s38
	v_cmp_le_f32_e64 s1, s25, 0
	v_cvt_f32_u32_e32 v3, s41
	v_rcp_iflag_f32_e32 v2, v2
	s_sub_i32 s2, 0, s41
	s_abs_i32 s42, s30
	s_and_b32 vcc_lo, exec_lo, s1
	v_rcp_iflag_f32_e32 v3, v3
	s_sub_i32 s1, 0, s35
	s_abs_i32 s40, s33
	v_mul_f32_e32 v2, 0x4f7ffffe, v2
	v_mul_f32_e32 v3, 0x4f7ffffe, v3
	v_cvt_u32_f32_e32 v2, v2
	v_cvt_u32_f32_e32 v3, v3
	v_readfirstlane_b32 s3, v2
	v_readfirstlane_b32 s25, v3
	s_mul_i32 s1, s1, s3
	s_mul_hi_u32 s1, s3, s1
	s_mul_i32 s2, s2, s25
	s_add_i32 s3, s3, s1
	s_mul_hi_u32 s2, s25, s2
	s_add_i32 s25, s25, s2
	s_cbranch_vccnz .LBB23_2
; %bb.1:
	s_waitcnt lgkmcnt(0)
	v_sub_co_u32 v3, vcc_lo, s30, s0
	v_mov_b32_e32 v2, s26
	s_add_i32 s0, s30, 1
	v_lshlrev_b32_e32 v3, 1, v3
	v_cndmask_b32_e32 v2, s27, v2, vcc_lo
	v_or_b32_e32 v3, 1, v3
	v_cndmask_b32_e64 v3, v3, s0, vcc_lo
	v_cmp_neq_f32_e32 vcc_lo, 1.0, v2
	s_mov_b32 s0, 0x3e76c4e1
	v_cvt_f32_i32_e32 v3, v3
	v_cndmask_b32_e32 v4, 1.0, v3, vcc_lo
	v_cmp_neq_f32_e32 vcc_lo, 0, v4
	v_cndmask_b32_e32 v5, 1.0, v2, vcc_lo
	v_frexp_mant_f32_e64 v2, |v5|
	v_cmp_eq_f32_e64 s2, 0, v5
	v_cmp_gt_f32_e32 vcc_lo, 0x3f2aaaab, v2
	v_cndmask_b32_e64 v3, 1.0, 2.0, vcc_lo
	v_mul_f32_e32 v2, v2, v3
	v_add_f32_e32 v3, 1.0, v2
	v_add_f32_e32 v7, -1.0, v2
	v_rcp_f32_e32 v6, v3
	v_add_f32_e32 v9, -1.0, v3
	v_sub_f32_e32 v2, v2, v9
	v_mul_f32_e32 v8, v7, v6
	v_mul_f32_e32 v10, v3, v8
	v_fma_f32 v3, v8, v3, -v10
	v_fmac_f32_e32 v3, v8, v2
	v_add_f32_e32 v2, v10, v3
	v_sub_f32_e32 v9, v7, v2
	v_sub_f32_e32 v10, v2, v10
	;; [unrolled: 1-line block ×5, first 2 shown]
	v_add_f32_e32 v2, v3, v2
	v_add_f32_e32 v2, v9, v2
	v_mul_f32_e32 v2, v6, v2
	v_add_f32_e32 v6, v8, v2
	v_sub_f32_e32 v3, v6, v8
	v_mul_f32_e32 v7, v6, v6
	v_sub_f32_e32 v8, v2, v3
	v_fma_f32 v2, v6, v6, -v7
	v_add_f32_e32 v3, v8, v8
	v_fmac_f32_e32 v2, v6, v3
	v_add_f32_e32 v9, v7, v2
	v_fmaak_f32 v3, s0, v9, 0x3e91f4c4
	v_sub_f32_e32 v7, v9, v7
	v_mul_f32_e32 v14, v6, v9
	v_fmaak_f32 v3, v9, v3, 0x3ecccdef
	v_sub_f32_e32 v7, v2, v7
	v_fma_f32 v15, v9, v6, -v14
	v_mul_f32_e32 v10, v9, v3
	v_fmac_f32_e32 v15, v9, v8
	v_ldexp_f32 v8, v8, 1
	v_fma_f32 v11, v9, v3, -v10
	v_fmac_f32_e32 v15, v7, v6
	v_fmac_f32_e32 v11, v7, v3
	v_cvt_f64_f32_e64 v[2:3], |v5|
	v_add_f32_e32 v12, v10, v11
	v_sub_f32_e32 v10, v12, v10
	v_add_f32_e32 v13, 0x3f2aaaaa, v12
	v_sub_f32_e32 v10, v11, v10
	v_add_f32_e32 v11, 0xbf2aaaaa, v13
	v_add_f32_e32 v10, 0x31739010, v10
	v_sub_f32_e32 v11, v12, v11
	v_frexp_exp_i32_f64_e32 v2, v[2:3]
	v_add_f32_e32 v9, v10, v11
	v_add_f32_e32 v10, v14, v15
	;; [unrolled: 1-line block ×3, first 2 shown]
	v_sub_f32_e32 v12, v10, v14
	v_sub_f32_e32 v3, v13, v7
	v_mul_f32_e32 v11, v10, v7
	v_sub_f32_e32 v12, v15, v12
	v_add_f32_e32 v3, v9, v3
	v_fma_f32 v9, v10, v7, -v11
	v_subrev_co_ci_u32_e64 v2, null, 0, v2, vcc_lo
	v_fmac_f32_e32 v9, v10, v3
	v_ldexp_f32 v3, v6, 1
	v_cvt_f32_i32_e32 v2, v2
	v_fmac_f32_e32 v9, v12, v7
	v_add_f32_e32 v6, v11, v9
	v_add_f32_e32 v7, v3, v6
	v_sub_f32_e32 v10, v6, v11
	v_mul_f32_e32 v11, 0x3f317218, v2
	v_sub_f32_e32 v3, v7, v3
	v_sub_f32_e32 v9, v9, v10
	v_fma_f32 v10, 0x3f317218, v2, -v11
	v_sub_f32_e32 v3, v6, v3
	v_add_f32_e32 v6, v8, v9
	v_fmamk_f32 v2, v2, 0xb102e308, v10
	v_add_f32_e32 v3, v6, v3
	v_add_f32_e32 v6, v11, v2
	v_add_f32_e32 v8, v7, v3
	v_sub_f32_e32 v11, v6, v11
	v_add_f32_e32 v9, v6, v8
	v_sub_f32_e32 v7, v8, v7
	v_sub_f32_e32 v2, v2, v11
	;; [unrolled: 1-line block ×6, first 2 shown]
	v_add_f32_e32 v8, v2, v3
	v_sub_f32_e32 v6, v6, v12
	v_add_f32_e32 v6, v7, v6
	v_sub_f32_e32 v7, v8, v2
	;; [unrolled: 2-line block ×3, first 2 shown]
	v_sub_f32_e32 v3, v3, v7
	v_add_f32_e32 v10, v9, v6
	v_sub_f32_e32 v2, v2, v8
	v_sub_f32_e32 v7, v10, v9
	v_add_f32_e32 v2, v3, v2
	v_sub_f32_e32 v3, v6, v7
	v_add_f32_e32 v2, v2, v3
	v_add_f32_e32 v3, v10, v2
	v_sub_f32_e32 v6, v3, v10
	v_mul_f32_e32 v7, v4, v3
	v_sub_f32_e32 v2, v2, v6
	v_fma_f32 v3, v4, v3, -v7
	v_cmp_class_f32_e64 vcc_lo, v7, 0x204
	v_fmac_f32_e32 v3, v4, v2
	v_add_f32_e32 v2, v7, v3
	v_cndmask_b32_e32 v6, v2, v7, vcc_lo
	v_sub_f32_e32 v2, v2, v7
	v_cmp_eq_f32_e32 vcc_lo, 0x42b17218, v6
	v_sub_f32_e32 v2, v3, v2
	v_cndmask_b32_e64 v8, 0, 0x37000000, vcc_lo
	v_cmp_neq_f32_e64 vcc_lo, 0x7f800000, |v6|
	v_sub_f32_e32 v9, v6, v8
	v_cndmask_b32_e32 v2, 0, v2, vcc_lo
	v_trunc_f32_e32 v6, v4
	v_mul_f32_e32 v10, 0x3fb8aa3b, v9
	v_cmp_ngt_f32_e32 vcc_lo, 0xc2ce8ed0, v9
	v_add_f32_e32 v2, v8, v2
	v_fma_f32 v11, 0x3fb8aa3b, v9, -v10
	v_rndne_f32_e32 v12, v10
	v_fmamk_f32 v11, v9, 0x32a5705f, v11
	v_sub_f32_e32 v10, v10, v12
	v_cvt_i32_f32_e32 v7, v12
	v_add_f32_e32 v10, v10, v11
	v_exp_f32_e32 v10, v10
	v_ldexp_f32 v3, v10, v7
	v_mul_f32_e32 v7, 0.5, v4
	v_cndmask_b32_e32 v3, 0, v3, vcc_lo
	v_cmp_nlt_f32_e32 vcc_lo, 0x42b17218, v9
	v_trunc_f32_e32 v10, v7
	v_cndmask_b32_e32 v3, 0x7f800000, v3, vcc_lo
	v_cmp_eq_f32_e32 vcc_lo, v6, v4
	v_cmp_neq_f32_e64 s0, v10, v7
	v_fma_f32 v2, v3, v2, v3
	v_cmp_class_f32_e64 s1, v3, 0x204
	s_and_b32 s0, vcc_lo, s0
	v_cndmask_b32_e64 v6, 1.0, v5, s0
	v_cndmask_b32_e64 v2, v2, v3, s1
	v_cmp_gt_f32_e64 s1, 0, v4
	v_bfi_b32 v2, 0x7fffffff, v2, v6
	s_xor_b32 s1, s1, s2
	v_cndmask_b32_e64 v6, 0, v5, s0
	v_cndmask_b32_e64 v3, 0x7f800000, 0, s1
	v_cmp_class_f32_e64 s0, v5, 0x204
	v_cndmask_b32_e32 v4, 0x7fc00000, v2, vcc_lo
	v_cmp_gt_f32_e32 vcc_lo, 0, v5
	v_bfi_b32 v3, 0x7fffffff, v3, v6
	v_cndmask_b32_e32 v2, v2, v4, vcc_lo
	s_or_b32 vcc_lo, s2, s0
	v_cndmask_b32_e32 v2, v2, v3, vcc_lo
	v_cmp_o_f32_e32 vcc_lo, v5, v5
	v_cndmask_b32_e32 v67, 0x7fc00000, v2, vcc_lo
.LBB23_2:
	s_load_dwordx16 s[8:23], s[4:5], 0x0
	s_waitcnt lgkmcnt(0)
	v_cmp_eq_u32_e64 s0, 0, v1
	v_mbcnt_lo_u32_b32 v66, -1, 0
	s_mul_hi_u32 s43, s42, s25
	s_mul_hi_u32 s36, s40, s3
	s_and_saveexec_b32 s25, s0
	s_cbranch_execz .LBB23_11
; %bb.3:
	s_load_dwordx4 s[44:47], s[4:5], 0x70
	v_lshlrev_b32_e32 v15, 4, v0
	v_xor_b32_e32 v6, 4, v66
	v_xor_b32_e32 v8, 2, v66
	;; [unrolled: 1-line block ×3, first 2 shown]
	v_cmp_gt_i32_e32 vcc_lo, 32, v6
	s_waitcnt lgkmcnt(0)
	s_mul_i32 s1, s33, s46
	s_mul_i32 s2, s44, s6
	;; [unrolled: 1-line block ×3, first 2 shown]
	s_add_i32 s1, s1, s2
	s_add_i32 s1, s1, s3
	s_ashr_i32 s3, s1, 31
	s_add_u32 s2, s8, s1
	s_addc_u32 s3, s9, s3
	s_mov_b32 s8, exec_lo
	global_load_dwordx4 v[2:5], v15, s[2:3]
	s_waitcnt vmcnt(0)
	v_mul_f32_e32 v9, s24, v2
	v_mul_f32_e32 v11, s24, v3
	v_cndmask_b32_e32 v3, v66, v6, vcc_lo
	v_mul_f32_e32 v13, s24, v4
	v_mul_f32_e32 v12, s24, v5
	v_cmp_gt_i32_e32 vcc_lo, 32, v8
	v_max_f32_e64 v7, |v9|, |v11|
	v_lshlrev_b32_e32 v6, 2, v3
	v_fma_f32 v2, s24, v2, v11
	v_cndmask_b32_e32 v8, v66, v8, vcc_lo
	v_max3_f32 v3, v7, |v13|, |v12|
	v_cmp_gt_i32_e32 vcc_lo, 32, v10
	v_fmac_f32_e32 v2, s24, v4
	v_lshlrev_b32_e32 v8, 2, v8
	ds_bpermute_b32 v7, v6, v3
	v_cndmask_b32_e32 v10, v66, v10, vcc_lo
	v_fmac_f32_e32 v2, s24, v5
	ds_bpermute_b32 v5, v6, v2
	s_waitcnt lgkmcnt(1)
	v_max_f32_e32 v7, v7, v7
	v_max_f32_e32 v3, v3, v7
	s_waitcnt lgkmcnt(0)
	v_add_f32_e32 v2, v2, v5
	ds_bpermute_b32 v7, v8, v3
	s_waitcnt lgkmcnt(0)
	v_max_f32_e32 v14, v7, v7
	v_lshlrev_b32_e32 v7, 2, v10
	v_max_f32_e32 v3, v3, v14
	ds_bpermute_b32 v10, v7, v3
	s_waitcnt lgkmcnt(0)
	v_max_f32_e32 v4, v10, v10
	ds_bpermute_b32 v10, v8, v2
	v_max_f32_e32 v3, v3, v4
	v_div_scale_f32 v4, null, 0x42fe0000, 0x42fe0000, v3
	v_div_scale_f32 v16, vcc_lo, v3, 0x42fe0000, v3
	v_rcp_f32_e32 v14, v4
	v_fma_f32 v5, -v4, v14, 1.0
	v_fmac_f32_e32 v14, v5, v14
	s_waitcnt lgkmcnt(0)
	v_add_f32_e32 v5, v2, v10
	v_mul_f32_e32 v17, v16, v14
	ds_bpermute_b32 v10, v7, v5
	v_fma_f32 v18, -v4, v17, v16
	v_fmac_f32_e32 v17, v18, v14
	v_fma_f32 v2, -v4, v17, v16
	v_div_fmas_f32 v2, v2, v14, v17
	v_mov_b32_e32 v14, 0
	v_div_fixup_f32 v4, v2, 0x42fe0000, v3
	v_add_co_u32 v2, s1, s2, v15
	v_add_co_ci_u32_e64 v3, null, s3, 0, s1
	v_cmpx_neq_f32_e32 0, v4
	s_cbranch_execz .LBB23_5
; %bb.4:
	v_div_scale_f32 v14, null, v4, v4, v9
	v_div_scale_f32 v15, null, v4, v4, v11
	;; [unrolled: 1-line block ×3, first 2 shown]
	v_rcp_f32_e32 v16, v14
	v_div_scale_f32 v18, null, v4, v4, v12
	v_rcp_f32_e32 v19, v15
	v_rcp_f32_e32 v20, v17
	v_div_scale_f32 v24, vcc_lo, v9, v4, v9
	v_rcp_f32_e32 v21, v18
	v_fma_f32 v22, -v14, v16, 1.0
	v_fma_f32 v23, -v15, v19, 1.0
	;; [unrolled: 1-line block ×3, first 2 shown]
	v_fmac_f32_e32 v16, v22, v16
	v_div_scale_f32 v22, s1, v11, v4, v11
	v_fma_f32 v26, -v18, v21, 1.0
	v_fmac_f32_e32 v19, v23, v19
	v_fmac_f32_e32 v20, v25, v20
	v_div_scale_f32 v23, s2, v13, v4, v13
	v_fmac_f32_e32 v21, v26, v21
	v_mul_f32_e32 v26, v24, v16
	v_mul_f32_e32 v27, v22, v19
	;; [unrolled: 1-line block ×3, first 2 shown]
	v_div_scale_f32 v25, s3, v12, v4, v12
	v_fma_f32 v30, -v14, v26, v24
	v_fma_f32 v31, -v15, v27, v22
	;; [unrolled: 1-line block ×3, first 2 shown]
	v_mul_f32_e32 v29, v25, v21
	v_fmac_f32_e32 v26, v30, v16
	v_fmac_f32_e32 v27, v31, v19
	;; [unrolled: 1-line block ×3, first 2 shown]
	v_fma_f32 v33, -v18, v29, v25
	v_fma_f32 v14, -v14, v26, v24
	;; [unrolled: 1-line block ×4, first 2 shown]
	v_fmac_f32_e32 v29, v33, v21
	v_div_fmas_f32 v14, v14, v16, v26
	s_mov_b32 vcc_lo, s1
	v_div_fmas_f32 v15, v15, v19, v27
	s_mov_b32 vcc_lo, s2
	v_div_fixup_f32 v9, v14, v4, v9
	v_div_fmas_f32 v16, v17, v20, v28
	v_fma_f32 v17, -v18, v29, v25
	s_mov_b32 vcc_lo, s3
	v_div_fixup_f32 v11, v15, v4, v11
	v_div_fixup_f32 v13, v16, v4, v13
	v_div_fmas_f32 v16, v17, v21, v29
	v_trunc_f32_e32 v15, v11
	v_trunc_f32_e32 v17, v13
	v_div_fixup_f32 v12, v16, v4, v12
	v_trunc_f32_e32 v16, v9
	v_sub_f32_e32 v19, v11, v15
	v_sub_f32_e32 v14, v13, v17
	v_trunc_f32_e32 v18, v12
	v_sub_f32_e32 v21, v9, v16
	v_cmp_ge_f32_e64 s1, |v14|, 0.5
	v_sub_f32_e32 v20, v12, v18
	v_cndmask_b32_e64 v14, 0, 1.0, s1
	v_cmp_ge_f32_e64 s1, |v19|, 0.5
	v_bfi_b32 v13, 0x7fffffff, v14, v13
	v_cndmask_b32_e64 v14, 0, 1.0, s1
	v_cmp_ge_f32_e64 s1, |v20|, 0.5
	v_add_f32_e32 v13, v17, v13
	v_bfi_b32 v11, 0x7fffffff, v14, v11
	v_cndmask_b32_e64 v19, 0, 1.0, s1
	v_cmp_ge_f32_e64 s1, |v21|, 0.5
	v_mov_b32_e32 v14, 8
	v_cvt_i32_f32_e32 v13, v13
	v_add_f32_e32 v11, v15, v11
	v_bfi_b32 v12, 0x7fffffff, v19, v12
	v_cndmask_b32_e64 v17, 0, 1.0, s1
	v_and_b32_e32 v13, 0xff, v13
	v_cvt_i32_f32_e32 v11, v11
	v_add_f32_e32 v12, v18, v12
	v_bfi_b32 v9, 0x7fffffff, v17, v9
	v_lshlrev_b32_e32 v13, 16, v13
	v_lshlrev_b32_sdwa v11, v14, v11 dst_sel:DWORD dst_unused:UNUSED_PAD src0_sel:DWORD src1_sel:BYTE_0
	v_cvt_i32_f32_e32 v12, v12
	v_add_f32_e32 v9, v16, v9
	v_lshl_or_b32 v12, v12, 24, v13
	v_cvt_i32_f32_e32 v9, v9
	v_and_b32_e32 v9, 0xff, v9
	v_or3_b32 v14, v12, v11, v9
.LBB23_5:
	s_or_b32 exec_lo, exec_lo, s8
	v_and_b32_e32 v11, 7, v0
	v_lshlrev_b32_e32 v9, 2, v0
	v_cmp_eq_u32_e64 s1, 0, v11
	ds_write_b32 v9, v14
	s_and_saveexec_b32 s2, s1
	s_cbranch_execz .LBB23_7
; %bb.6:
	s_waitcnt lgkmcnt(1)
	v_add_f32_e32 v5, v5, v10
	ds_write_b64 v0, v[4:5] offset:256
.LBB23_7:
	s_or_b32 exec_lo, exec_lo, s2
	global_load_dwordx4 v[13:16], v[2:3], off offset:512
	s_mov_b32 s9, exec_lo
	s_waitcnt vmcnt(0)
	v_mul_f32_e32 v5, s24, v13
	s_waitcnt lgkmcnt(1)
	v_mul_f32_e32 v10, s24, v14
	v_mul_f32_e32 v12, s24, v15
	;; [unrolled: 1-line block ×3, first 2 shown]
	v_max_f32_e64 v2, |v5|, |v10|
	v_fma_f32 v4, s24, v13, v10
	v_max3_f32 v2, v2, |v12|, |v11|
	v_fmac_f32_e32 v4, s24, v15
	ds_bpermute_b32 v3, v6, v2
	v_fmac_f32_e32 v4, s24, v16
	ds_bpermute_b32 v6, v6, v4
	s_waitcnt lgkmcnt(1)
	v_max_f32_e32 v3, v3, v3
	v_max_f32_e32 v2, v2, v3
	ds_bpermute_b32 v3, v8, v2
	s_waitcnt lgkmcnt(0)
	v_max_f32_e32 v3, v3, v3
	v_max_f32_e32 v2, v2, v3
	;; [unrolled: 4-line block ×3, first 2 shown]
	v_add_f32_e32 v3, v4, v6
	v_div_scale_f32 v13, null, 0x42fe0000, 0x42fe0000, v2
	ds_bpermute_b32 v6, v8, v3
	v_div_scale_f32 v8, vcc_lo, v2, 0x42fe0000, v2
	v_rcp_f32_e32 v14, v13
	v_fma_f32 v4, -v13, v14, 1.0
	v_fmac_f32_e32 v14, v4, v14
	s_waitcnt lgkmcnt(0)
	v_add_f32_e32 v3, v3, v6
	v_mul_f32_e32 v15, v8, v14
	v_fma_f32 v4, -v13, v15, v8
	v_fmac_f32_e32 v15, v4, v14
	ds_bpermute_b32 v4, v7, v3
	v_fma_f32 v6, -v13, v15, v8
	v_div_fmas_f32 v6, v6, v14, v15
	v_div_fixup_f32 v2, v6, 0x42fe0000, v2
	v_mov_b32_e32 v6, 0
	v_cmpx_neq_f32_e32 0, v2
	s_cbranch_execz .LBB23_9
; %bb.8:
	v_div_scale_f32 v6, null, v2, v2, v5
	v_div_scale_f32 v7, null, v2, v2, v10
	;; [unrolled: 1-line block ×3, first 2 shown]
	v_rcp_f32_e32 v8, v6
	v_div_scale_f32 v14, null, v2, v2, v11
	v_rcp_f32_e32 v15, v7
	v_rcp_f32_e32 v16, v13
	v_div_scale_f32 v20, vcc_lo, v5, v2, v5
	v_rcp_f32_e32 v17, v14
	v_fma_f32 v18, -v6, v8, 1.0
	v_fma_f32 v19, -v7, v15, 1.0
	;; [unrolled: 1-line block ×3, first 2 shown]
	v_fmac_f32_e32 v8, v18, v8
	v_div_scale_f32 v18, s2, v10, v2, v10
	v_fma_f32 v22, -v14, v17, 1.0
	v_fmac_f32_e32 v15, v19, v15
	v_fmac_f32_e32 v16, v21, v16
	v_div_scale_f32 v19, s3, v12, v2, v12
	v_fmac_f32_e32 v17, v22, v17
	v_mul_f32_e32 v22, v20, v8
	v_mul_f32_e32 v23, v18, v15
	;; [unrolled: 1-line block ×3, first 2 shown]
	v_div_scale_f32 v21, s8, v11, v2, v11
	v_fma_f32 v26, -v6, v22, v20
	v_fma_f32 v27, -v7, v23, v18
	;; [unrolled: 1-line block ×3, first 2 shown]
	v_mul_f32_e32 v25, v21, v17
	v_fmac_f32_e32 v22, v26, v8
	v_fmac_f32_e32 v23, v27, v15
	;; [unrolled: 1-line block ×3, first 2 shown]
	v_fma_f32 v29, -v14, v25, v21
	v_fma_f32 v6, -v6, v22, v20
	;; [unrolled: 1-line block ×4, first 2 shown]
	v_fmac_f32_e32 v25, v29, v17
	v_div_fmas_f32 v6, v6, v8, v22
	s_mov_b32 vcc_lo, s2
	v_div_fmas_f32 v7, v7, v15, v23
	s_mov_b32 vcc_lo, s3
	v_div_fixup_f32 v5, v6, v2, v5
	v_div_fmas_f32 v8, v13, v16, v24
	v_fma_f32 v13, -v14, v25, v21
	s_mov_b32 vcc_lo, s8
	v_div_fixup_f32 v7, v7, v2, v10
	v_div_fixup_f32 v8, v8, v2, v12
	v_div_fmas_f32 v12, v13, v17, v25
	v_trunc_f32_e32 v13, v8
	v_div_fixup_f32 v6, v12, v2, v11
	v_trunc_f32_e32 v11, v7
	v_trunc_f32_e32 v12, v5
	v_sub_f32_e32 v10, v8, v13
	v_trunc_f32_e32 v14, v6
	v_sub_f32_e32 v15, v7, v11
	v_sub_f32_e32 v17, v5, v12
	v_cmp_ge_f32_e64 s2, |v10|, 0.5
	v_sub_f32_e32 v16, v6, v14
	v_cndmask_b32_e64 v10, 0, 1.0, s2
	v_cmp_ge_f32_e64 s2, |v15|, 0.5
	v_bfi_b32 v8, 0x7fffffff, v10, v8
	v_cndmask_b32_e64 v10, 0, 1.0, s2
	v_cmp_ge_f32_e64 s2, |v16|, 0.5
	v_add_f32_e32 v8, v13, v8
	v_bfi_b32 v7, 0x7fffffff, v10, v7
	v_cndmask_b32_e64 v15, 0, 1.0, s2
	v_cmp_ge_f32_e64 s2, |v17|, 0.5
	v_mov_b32_e32 v10, 8
	v_cvt_i32_f32_e32 v8, v8
	v_add_f32_e32 v7, v11, v7
	v_bfi_b32 v6, 0x7fffffff, v15, v6
	v_cndmask_b32_e64 v13, 0, 1.0, s2
	v_and_b32_e32 v8, 0xff, v8
	v_cvt_i32_f32_e32 v7, v7
	v_add_f32_e32 v6, v14, v6
	v_bfi_b32 v5, 0x7fffffff, v13, v5
	v_lshlrev_b32_e32 v8, 16, v8
	v_lshlrev_b32_sdwa v7, v10, v7 dst_sel:DWORD dst_unused:UNUSED_PAD src0_sel:DWORD src1_sel:BYTE_0
	v_cvt_i32_f32_e32 v6, v6
	v_add_f32_e32 v5, v12, v5
	v_lshl_or_b32 v6, v6, 24, v8
	v_cvt_i32_f32_e32 v5, v5
	v_and_b32_e32 v5, 0xff, v5
	v_or3_b32 v6, v6, v7, v5
.LBB23_9:
	s_or_b32 exec_lo, exec_lo, s9
	ds_write_b32 v9, v6 offset:128
	s_and_b32 exec_lo, exec_lo, s1
	s_cbranch_execz .LBB23_11
; %bb.10:
	s_waitcnt lgkmcnt(1)
	v_add_f32_e32 v3, v3, v4
	ds_write_b64 v0, v[2:3] offset:288
.LBB23_11:
	s_or_b32 exec_lo, exec_lo, s25
	v_and_b32_e32 v19, 1, v0
	v_mov_b32_e32 v77, 0
	s_waitcnt lgkmcnt(0)
	s_barrier
	buffer_gl0_inv
	v_lshlrev_b32_e32 v71, 2, v19
	s_ashr_i32 s31, s30, 31
	s_ashr_i32 s1, s38, 31
	;; [unrolled: 1-line block ×3, first 2 shown]
	s_cmp_eq_u64 s[18:19], 0
	ds_read2_b32 v[34:35], v71 offset1:2
	ds_read2_b32 v[36:37], v71 offset0:4 offset1:6
	ds_read2_b32 v[38:39], v71 offset0:8 offset1:10
	;; [unrolled: 1-line block ×3, first 2 shown]
	ds_read_b128 v[2:5], v77 offset:256
	ds_read_b128 v[6:9], v77 offset:272
	;; [unrolled: 1-line block ×4, first 2 shown]
	ds_read2_b32 v[42:43], v71 offset0:16 offset1:18
	ds_read2_b32 v[44:45], v71 offset0:20 offset1:22
	;; [unrolled: 1-line block ×12, first 2 shown]
	s_waitcnt lgkmcnt(0)
	s_barrier
	buffer_gl0_inv
	s_cbranch_scc1 .LBB23_13
; %bb.12:
	s_load_dword s2, s[4:5], 0xd0
	s_mov_b32 s3, 0
	s_waitcnt lgkmcnt(0)
	s_mul_i32 s2, s2, s33
	s_add_i32 s2, s2, s6
	s_lshl_b64 s[2:3], s[2:3], 2
	s_add_u32 s2, s18, s2
	s_addc_u32 s3, s19, s3
	s_load_dword s34, s[2:3], 0x0
.LBB23_13:
	v_lshlrev_b32_e32 v18, 5, v1
	v_lshlrev_b32_e32 v70, 2, v0
	s_lshl_b32 s2, s7, 7
	s_mov_b32 s9, 0
	s_waitcnt lgkmcnt(0)
	s_cmp_ge_i32 s2, s34
	v_add_nc_u32_e32 v68, v18, v0
	v_lshlrev_b32_e32 v69, 1, v68
	s_cbranch_scc1 .LBB23_21
; %bb.14:
	s_clause 0x1
	s_load_dwordx4 s[24:27], s[4:5], 0x98
	s_load_dwordx2 s[18:19], s[4:5], 0x8c
	v_xor_b32_e32 v106, 2, v66
	s_xor_b32 s45, s31, s1
	v_and_b32_e32 v20, 0x7e, v0
	v_cmp_eq_u32_e64 s1, 0, v19
	v_xor_b32_e32 v19, 4, v66
	v_cmp_gt_i32_e32 vcc_lo, 32, v106
	v_xor_b32_e32 v107, 8, v66
	v_add_nc_u32_e32 v86, v18, v20
	v_or_b32_e32 v21, 56, v71
	s_mul_i32 s49, s43, s41
	v_cndmask_b32_e32 v20, v66, v106, vcc_lo
	v_cmp_gt_i32_e32 vcc_lo, 32, v19
	s_sub_i32 s42, s42, s49
	v_and_b32_e32 v88, 12, v21
	v_and_b32_e32 v90, 28, v21
	s_add_i32 s47, s43, 1
	v_cndmask_b32_e32 v19, v66, v19, vcc_lo
	v_cmp_gt_i32_e32 vcc_lo, 32, v107
	s_waitcnt lgkmcnt(0)
	v_mul_lo_u32 v75, v18, s26
	s_mul_hi_u32 s50, s24, s33
	s_mul_i32 s51, s24, s8
	s_mul_i32 s25, s25, s33
	v_cndmask_b32_e32 v21, v66, v107, vcc_lo
	s_add_i32 s50, s50, s51
	s_mul_i32 s46, s36, s35
	s_mul_i32 s44, s37, s6
	v_add_nc_u32_e32 v76, s26, v75
	s_clause 0x2
	s_load_dwordx2 s[38:39], s[4:5], 0xa8
	s_load_dwordx2 s[36:37], s[4:5], 0xc8
	s_load_dword s48, s[4:5], 0xd4
	s_sub_i32 s49, s42, s41
	s_add_i32 s50, s50, s25
	s_cmp_ge_u32 s42, s41
	v_add_nc_u32_e32 v78, s26, v76
	s_cselect_b32 s25, s47, s43
	s_cselect_b32 s42, s49, s42
	s_add_i32 s43, s25, 1
	s_cmp_ge_u32 s42, s41
	v_add_nc_u32_e32 v80, s26, v78
	s_cselect_b32 s25, s43, s25
	s_mul_i32 s24, s24, s33
	s_xor_b32 s25, s25, s45
	v_and_b32_e32 v32, 30, v66
	v_add_nc_u32_e32 v84, s26, v80
	s_sub_i32 s25, s25, s45
	v_xor_b32_e32 v108, 16, v66
	s_mul_i32 s19, s25, s19
	s_mul_i32 s25, s25, s27
	v_add_nc_u32_e32 v85, s26, v84
	s_ashr_i32 s27, s19, 31
	s_add_u32 s10, s10, s24
	s_waitcnt lgkmcnt(0)
	s_mul_hi_u32 s51, s38, s33
	s_mul_i32 s41, s38, s8
	v_add_nc_u32_e32 v89, s26, v85
	s_addc_u32 s11, s11, s50
	s_add_u32 s24, s10, s19
	s_mul_i32 s39, s39, s33
	s_addc_u32 s27, s11, s27
	v_add_nc_u32_e32 v94, s26, v89
	s_add_i32 s10, s51, s41
	s_mul_i32 s38, s38, s33
	s_ashr_i32 s11, s25, 31
	s_add_i32 s10, s10, s39
	v_add_nc_u32_e32 v99, s26, v94
	s_add_u32 s12, s12, s38
	s_addc_u32 s10, s13, s10
	s_add_u32 s12, s12, s25
	s_addc_u32 s13, s10, s11
	v_add_nc_u32_e32 v103, s26, v99
	s_sub_i32 s10, s40, s46
	v_or_b32_e32 v22, 0x58, v71
	s_sub_i32 s11, s10, s35
	s_cmp_ge_u32 s10, s35
	v_add_nc_u32_e32 v106, s26, v103
	s_cselect_b32 s10, s11, s10
	v_xor_b32_e32 v77, 1, v66
	s_sub_i32 s11, s10, s35
	s_cmp_ge_u32 s10, s35
	v_add_nc_u32_e32 v107, s26, v106
	s_cselect_b32 s10, s11, s10
	v_lshlrev_b32_e32 v79, 1, v18
	s_xor_b32 s10, s10, s8
	v_add_nc_u32_e32 v18, 2, v32
	v_add_nc_u32_e32 v110, s26, v107
	s_sub_i32 s8, s10, s8
	v_cmp_gt_i32_e32 vcc_lo, 32, v108
	s_ashr_i32 s10, s8, 31
	s_mul_hi_u32 s11, s36, s8
	v_add_nc_u32_e32 v113, s26, v110
	s_mul_i32 s10, s36, s10
	s_mul_i32 s35, s37, s8
	s_add_i32 s10, s11, s10
	s_mul_i32 s8, s36, s8
	v_add_nc_u32_e32 v114, s26, v113
	s_add_i32 s10, s10, s35
	s_add_u32 s8, s14, s8
	s_mov_b32 s3, s9
	s_addc_u32 s10, s15, s10
	v_add_nc_u32_e32 v115, s26, v114
	s_ashr_i32 s11, s44, 31
	v_and_b32_e32 v91, 12, v22
	v_and_b32_e32 v92, 28, v22
	v_cndmask_b32_e32 v22, v66, v108, vcc_lo
	v_add_nc_u32_e32 v116, s26, v115
	v_cmp_lt_i32_e32 vcc_lo, v77, v18
	s_add_u32 s8, s8, s44
	s_addc_u32 s35, s10, s11
	s_lshl_b64 s[10:11], s[2:3], 1
	v_add_nc_u32_e32 v117, s26, v116
	v_mul_lo_u32 v128, v86, s18
	s_mul_i32 s19, s26, s2
	s_add_u32 s10, s8, s10
	s_addc_u32 s11, s35, s11
	v_add_nc_u32_e32 v118, s26, v117
	v_or_b32_e32 v72, 24, v71
	v_or_b32_e32 v23, 0x78, v71
	;; [unrolled: 1-line block ×4, first 2 shown]
	v_add_nc_u32_e32 v119, s26, v118
	v_or_b32_e32 v31, 0xd8, v71
	v_or_b32_e32 v33, 0xf8, v71
	v_add_nc_u32_e32 v109, 0x80, v70
	v_cndmask_b32_e32 v18, v66, v77, vcc_lo
	v_add_nc_u32_e32 v120, s26, v119
	s_mul_i32 s25, s18, s2
	s_add_u32 s3, s12, s19
	s_addc_u32 s19, s13, 0
	s_add_u32 s24, s24, s25
	v_add_nc_u32_e32 v121, s26, v120
	s_addc_u32 s25, s27, 0
	s_cmp_lg_u64 s[14:15], 0
	v_mov_b32_e32 v26, 0
	v_or_b32_e32 v73, 8, v71
	v_add_nc_u32_e32 v123, s26, v121
	v_or_b32_e32 v74, 16, v71
	v_bfe_u32 v81, v0, 3, 27
	v_and_b32_e32 v82, 28, v70
	v_mov_b32_e32 v28, 0xfeffffff
	v_add_nc_u32_e32 v125, s26, v123
	v_mov_b32_e32 v83, 0x10001
	v_mov_b32_e32 v27, 0
	;; [unrolled: 1-line block ×4, first 2 shown]
	v_add_nc_u32_e32 v127, s26, v125
	v_and_b32_e32 v87, 12, v72
	v_and_b32_e32 v93, 12, v23
	;; [unrolled: 1-line block ×4, first 2 shown]
	v_add_nc_u32_e32 v129, s26, v127
	v_and_b32_e32 v97, 28, v29
	v_and_b32_e32 v98, 12, v30
	;; [unrolled: 1-line block ×4, first 2 shown]
	v_add_nc_u32_e32 v130, s26, v129
	v_and_b32_e32 v102, 28, v31
	v_and_b32_e32 v104, 12, v33
	;; [unrolled: 1-line block ×3, first 2 shown]
	v_lshrrev_b32_e32 v108, 5, v109
	v_add_nc_u32_e32 v131, s26, v130
	v_and_b32_e32 v109, 28, v109
	v_lshlrev_b32_e32 v111, 2, v20
	v_lshlrev_b32_e32 v112, 2, v19
	;; [unrolled: 1-line block ×3, first 2 shown]
	v_add_nc_u32_e32 v132, s26, v131
	v_lshlrev_b32_e32 v124, 2, v22
	v_lshlrev_b32_e32 v126, 2, v18
	v_add_nc_u32_e32 v133, s18, v128
	v_ashrrev_i32_e32 v136, 31, v129
	v_add_nc_u32_e32 v134, s26, v132
	v_ashrrev_i32_e32 v137, 31, v130
	v_ashrrev_i32_e32 v139, 31, v131
	;; [unrolled: 1-line block ×3, first 2 shown]
	v_mov_b32_e32 v77, 0
	v_add_nc_u32_e32 v135, s26, v134
	v_ashrrev_i32_e32 v141, 31, v134
	s_cselect_b32 s14, -1, 0
	s_lshl_b32 s8, s48, 7
	s_mul_i32 s15, s8, s18
	v_add_nc_u32_e32 v138, s26, v135
	v_ashrrev_i32_e32 v142, 31, v135
	s_mul_i32 s18, s8, s26
	s_lshl_b64 s[12:13], s[8:9], 1
	v_ashrrev_i32_e32 v143, 31, v138
.LBB23_15:                              ; =>This Inner Loop Header: Depth=1
	v_ashrrev_i32_e32 v19, 31, v128
	v_add_co_u32 v18, vcc_lo, s24, v128
	v_add_co_ci_u32_e64 v19, null, s25, v19, vcc_lo
	v_add_co_u32 v20, vcc_lo, v18, v71
	v_add_co_ci_u32_e64 v21, null, 0, v19, vcc_lo
	s_clause 0x1
	global_load_dwordx2 v[22:23], v[18:19], off
	global_load_dword v29, v[20:21], off offset:8
	s_waitcnt vmcnt(1)
	v_ashrrev_i32_e32 v31, v71, v23
	s_waitcnt vmcnt(0)
	v_and_b32_e32 v30, 0xf0f0f0f, v29
	v_lshrrev_b32_e32 v29, 4, v29
	v_lshlrev_b32_e32 v32, 4, v31
	v_lshlrev_b32_e32 v33, 11, v31
	;; [unrolled: 1-line block ×4, first 2 shown]
	v_and_b32_e32 v29, 0xf0f0f0f, v29
	v_and_b32_e32 v32, 16, v32
	;; [unrolled: 1-line block ×5, first 2 shown]
	v_or3_b32 v30, v31, v30, v144
	v_mov_b32_e32 v31, 0
	v_or3_b32 v30, v30, v32, v33
	v_ashrrev_i32_e32 v33, v73, v23
	v_dot4c_i32_i8 v31, v30, v34
	v_cvt_f32_f16_e32 v30, v22
	v_lshlrev_b32_e32 v144, 4, v33
	v_lshlrev_b32_e32 v145, 11, v33
	;; [unrolled: 1-line block ×4, first 2 shown]
	v_mul_f32_e32 v32, v2, v30
	v_cvt_f32_i32_e32 v30, v31
	global_load_dword v31, v[20:21], off offset:16
	v_and_b32_e32 v144, 16, v144
	v_and_b32_e32 v146, 0x100000, v146
	;; [unrolled: 1-line block ×3, first 2 shown]
	v_cvt_f32_f16_sdwa v22, v22 dst_sel:DWORD dst_unused:UNUSED_PAD src0_sel:WORD_1
	v_and_b32_e32 v145, 0x1000, v145
	v_or3_b32 v33, v146, v33, v144
	v_mul_f32_e32 v22, v3, v22
	v_mul_f32_e32 v22, 0x3e000000, v22
	v_fma_f32 v30, v32, v30, v22
	v_add_f32_e32 v30, 0, v30
	s_waitcnt vmcnt(0)
	v_and_b32_e32 v31, 0xf0f0f0f, v31
	v_or3_b32 v31, v33, v145, v31
	v_mov_b32_e32 v33, 0
	v_dot4c_i32_i8 v33, v31, v35
	v_cvt_f32_i32_e32 v31, v33
	v_fma_f32 v31, v32, v31, v22
	v_add_f32_e32 v30, v30, v31
	v_ashrrev_i32_e32 v31, v74, v23
	v_ashrrev_i32_e32 v23, v72, v23
	v_lshlrev_b32_e32 v33, 4, v31
	v_lshlrev_b32_e32 v144, 11, v31
	;; [unrolled: 1-line block ×4, first 2 shown]
	v_and_b32_e32 v33, 16, v33
	v_and_b32_e32 v144, 0x1000, v144
	;; [unrolled: 1-line block ×4, first 2 shown]
	v_or3_b32 v29, v31, v29, v145
	v_mov_b32_e32 v31, 0
	v_or3_b32 v29, v29, v33, v144
	v_lshlrev_b32_e32 v33, 11, v23
	v_lshlrev_b32_e32 v144, 18, v23
	v_dot4c_i32_i8 v31, v29, v36
	v_and_b32_e32 v33, 0x1000, v33
	v_and_b32_e32 v144, 0x100000, v144
	v_cvt_f32_i32_e32 v29, v31
	v_fma_f32 v29, v32, v29, v22
	v_add_f32_e32 v31, v29, v30
	v_add_co_u32 v29, vcc_lo, v18, v87
	v_add_co_ci_u32_e64 v30, null, 0, v19, vcc_lo
	global_load_dword v29, v[29:30], off offset:8
	v_lshlrev_b32_e32 v30, 4, v23
	v_lshlrev_b32_e32 v23, 25, v23
	v_and_b32_e32 v30, 16, v30
	v_and_b32_e32 v23, 0x10000000, v23
	v_or3_b32 v23, v144, v23, v30
	global_load_dword v30, v[20:21], off offset:32
	s_waitcnt vmcnt(1)
	v_lshrrev_b32_e32 v29, 4, v29
	v_and_b32_e32 v29, 0xf0f0f0f, v29
	v_or3_b32 v23, v23, v33, v29
	v_mov_b32_e32 v29, 0
	v_dot4c_i32_i8 v29, v23, v37
	v_cvt_f32_i32_e32 v23, v29
	v_fmac_f32_e32 v22, v32, v23
	v_add_f32_e32 v29, v31, v22
	global_load_dwordx2 v[22:23], v[18:19], off offset:24
	s_waitcnt vmcnt(1)
	v_and_b32_e32 v31, 0xf0f0f0f, v30
	v_lshrrev_b32_e32 v30, 4, v30
	v_and_b32_e32 v30, 0xf0f0f0f, v30
	s_waitcnt vmcnt(0)
	v_ashrrev_i32_e32 v32, v71, v23
	v_lshlrev_b32_e32 v33, 4, v32
	v_lshlrev_b32_e32 v144, 11, v32
	;; [unrolled: 1-line block ×4, first 2 shown]
	v_and_b32_e32 v33, 16, v33
	v_and_b32_e32 v144, 0x1000, v144
	;; [unrolled: 1-line block ×4, first 2 shown]
	v_or3_b32 v31, v32, v31, v145
	v_mov_b32_e32 v32, 0
	v_or3_b32 v31, v31, v33, v144
	v_ashrrev_i32_e32 v33, v73, v23
	v_dot4c_i32_i8 v32, v31, v38
	v_cvt_f32_f16_e32 v31, v22
	v_cvt_f32_f16_sdwa v22, v22 dst_sel:DWORD dst_unused:UNUSED_PAD src0_sel:WORD_1
	v_lshlrev_b32_e32 v144, 4, v33
	v_lshlrev_b32_e32 v145, 11, v33
	v_cvt_f32_i32_e32 v32, v32
	v_mul_f32_e32 v31, v4, v31
	v_mul_f32_e32 v22, v5, v22
	v_lshlrev_b32_e32 v146, 18, v33
	v_lshlrev_b32_e32 v33, 25, v33
	v_and_b32_e32 v144, 16, v144
	v_and_b32_e32 v145, 0x1000, v145
	v_mul_f32_e32 v22, 0x3e000000, v22
	v_and_b32_e32 v146, 0x100000, v146
	v_and_b32_e32 v33, 0x10000000, v33
	v_fma_f32 v32, v31, v32, v22
	v_or3_b32 v33, v146, v33, v144
	v_add_f32_e32 v29, v29, v32
	global_load_dword v32, v[20:21], off offset:40
	s_waitcnt vmcnt(0)
	v_and_b32_e32 v32, 0xf0f0f0f, v32
	v_or3_b32 v32, v33, v145, v32
	v_mov_b32_e32 v33, 0
	v_dot4c_i32_i8 v33, v32, v39
	v_cvt_f32_i32_e32 v32, v33
	v_fma_f32 v32, v31, v32, v22
	v_add_f32_e32 v29, v29, v32
	v_ashrrev_i32_e32 v32, v74, v23
	v_ashrrev_i32_e32 v23, v90, v23
	v_lshlrev_b32_e32 v33, 4, v32
	v_lshlrev_b32_e32 v144, 11, v32
	v_lshlrev_b32_e32 v145, 18, v32
	v_lshlrev_b32_e32 v32, 25, v32
	v_and_b32_e32 v33, 16, v33
	v_and_b32_e32 v144, 0x1000, v144
	;; [unrolled: 1-line block ×4, first 2 shown]
	v_or3_b32 v30, v32, v30, v145
	v_mov_b32_e32 v32, 0
	v_or3_b32 v30, v30, v33, v144
	v_lshlrev_b32_e32 v33, 11, v23
	v_lshlrev_b32_e32 v144, 18, v23
	v_dot4c_i32_i8 v32, v30, v40
	v_and_b32_e32 v33, 0x1000, v33
	v_and_b32_e32 v144, 0x100000, v144
	v_cvt_f32_i32_e32 v30, v32
	v_fma_f32 v30, v31, v30, v22
	v_add_f32_e32 v32, v30, v29
	v_add_co_u32 v29, vcc_lo, v18, v88
	v_add_co_ci_u32_e64 v30, null, 0, v19, vcc_lo
	global_load_dword v29, v[29:30], off offset:32
	v_lshlrev_b32_e32 v30, 4, v23
	v_lshlrev_b32_e32 v23, 25, v23
	v_and_b32_e32 v30, 16, v30
	v_and_b32_e32 v23, 0x10000000, v23
	v_or3_b32 v23, v144, v23, v30
	global_load_dword v30, v[20:21], off offset:56
	s_waitcnt vmcnt(1)
	v_lshrrev_b32_e32 v29, 4, v29
	v_and_b32_e32 v29, 0xf0f0f0f, v29
	v_or3_b32 v23, v23, v33, v29
	v_mov_b32_e32 v29, 0
	v_dot4c_i32_i8 v29, v23, v41
	v_cvt_f32_i32_e32 v23, v29
	v_fmac_f32_e32 v22, v31, v23
	v_add_f32_e32 v29, v32, v22
	global_load_dwordx2 v[22:23], v[18:19], off offset:48
	s_waitcnt vmcnt(1)
	v_and_b32_e32 v31, 0xf0f0f0f, v30
	v_lshrrev_b32_e32 v30, 4, v30
	v_and_b32_e32 v30, 0xf0f0f0f, v30
	s_waitcnt vmcnt(0)
	v_ashrrev_i32_e32 v32, v71, v23
	v_lshlrev_b32_e32 v33, 4, v32
	v_lshlrev_b32_e32 v144, 11, v32
	v_lshlrev_b32_e32 v145, 18, v32
	v_lshlrev_b32_e32 v32, 25, v32
	v_and_b32_e32 v33, 16, v33
	v_and_b32_e32 v144, 0x1000, v144
	;; [unrolled: 1-line block ×4, first 2 shown]
	v_or3_b32 v31, v32, v31, v145
	v_mov_b32_e32 v32, 0
	v_or3_b32 v31, v31, v33, v144
	v_ashrrev_i32_e32 v33, v73, v23
	v_dot4c_i32_i8 v32, v31, v42
	v_cvt_f32_f16_e32 v31, v22
	v_cvt_f32_f16_sdwa v22, v22 dst_sel:DWORD dst_unused:UNUSED_PAD src0_sel:WORD_1
	v_lshlrev_b32_e32 v144, 4, v33
	v_lshlrev_b32_e32 v145, 11, v33
	v_cvt_f32_i32_e32 v32, v32
	v_mul_f32_e32 v31, v6, v31
	v_mul_f32_e32 v22, v7, v22
	v_lshlrev_b32_e32 v146, 18, v33
	v_lshlrev_b32_e32 v33, 25, v33
	v_and_b32_e32 v144, 16, v144
	v_and_b32_e32 v145, 0x1000, v145
	v_mul_f32_e32 v22, 0x3e000000, v22
	v_and_b32_e32 v146, 0x100000, v146
	v_and_b32_e32 v33, 0x10000000, v33
	v_fma_f32 v32, v31, v32, v22
	v_or3_b32 v33, v146, v33, v144
	v_add_f32_e32 v29, v29, v32
	global_load_dword v32, v[20:21], off offset:64
	s_waitcnt vmcnt(0)
	v_and_b32_e32 v32, 0xf0f0f0f, v32
	v_or3_b32 v32, v33, v145, v32
	v_mov_b32_e32 v33, 0
	v_dot4c_i32_i8 v33, v32, v43
	v_cvt_f32_i32_e32 v32, v33
	v_fma_f32 v32, v31, v32, v22
	v_add_f32_e32 v29, v29, v32
	v_ashrrev_i32_e32 v32, v74, v23
	v_ashrrev_i32_e32 v23, v92, v23
	v_lshlrev_b32_e32 v33, 4, v32
	v_lshlrev_b32_e32 v144, 11, v32
	;; [unrolled: 1-line block ×4, first 2 shown]
	v_and_b32_e32 v33, 16, v33
	v_and_b32_e32 v144, 0x1000, v144
	;; [unrolled: 1-line block ×4, first 2 shown]
	v_or3_b32 v30, v32, v30, v145
	v_mov_b32_e32 v32, 0
	v_or3_b32 v30, v30, v33, v144
	v_lshlrev_b32_e32 v33, 11, v23
	v_lshlrev_b32_e32 v144, 18, v23
	v_dot4c_i32_i8 v32, v30, v44
	v_and_b32_e32 v33, 0x1000, v33
	v_and_b32_e32 v144, 0x100000, v144
	v_cvt_f32_i32_e32 v30, v32
	v_fma_f32 v30, v31, v30, v22
	v_add_f32_e32 v32, v30, v29
	v_add_co_u32 v29, vcc_lo, v18, v91
	v_add_co_ci_u32_e64 v30, null, 0, v19, vcc_lo
	global_load_dword v29, v[29:30], off offset:56
	v_lshlrev_b32_e32 v30, 4, v23
	v_lshlrev_b32_e32 v23, 25, v23
	v_and_b32_e32 v30, 16, v30
	v_and_b32_e32 v23, 0x10000000, v23
	v_or3_b32 v23, v144, v23, v30
	global_load_dword v30, v[20:21], off offset:80
	s_waitcnt vmcnt(1)
	v_lshrrev_b32_e32 v29, 4, v29
	v_and_b32_e32 v29, 0xf0f0f0f, v29
	v_or3_b32 v23, v23, v33, v29
	v_mov_b32_e32 v29, 0
	v_dot4c_i32_i8 v29, v23, v45
	v_cvt_f32_i32_e32 v23, v29
	v_fmac_f32_e32 v22, v31, v23
	v_add_f32_e32 v29, v32, v22
	global_load_dwordx2 v[22:23], v[18:19], off offset:72
	s_waitcnt vmcnt(1)
	v_and_b32_e32 v31, 0xf0f0f0f, v30
	v_lshrrev_b32_e32 v30, 4, v30
	v_and_b32_e32 v30, 0xf0f0f0f, v30
	s_waitcnt vmcnt(0)
	v_ashrrev_i32_e32 v32, v71, v23
	v_lshlrev_b32_e32 v33, 4, v32
	v_lshlrev_b32_e32 v144, 11, v32
	;; [unrolled: 1-line block ×4, first 2 shown]
	v_and_b32_e32 v33, 16, v33
	v_and_b32_e32 v144, 0x1000, v144
	;; [unrolled: 1-line block ×4, first 2 shown]
	v_or3_b32 v31, v32, v31, v145
	v_mov_b32_e32 v32, 0
	v_or3_b32 v31, v31, v33, v144
	v_ashrrev_i32_e32 v33, v73, v23
	v_dot4c_i32_i8 v32, v31, v46
	v_cvt_f32_f16_e32 v31, v22
	v_cvt_f32_f16_sdwa v22, v22 dst_sel:DWORD dst_unused:UNUSED_PAD src0_sel:WORD_1
	v_lshlrev_b32_e32 v144, 4, v33
	v_lshlrev_b32_e32 v145, 11, v33
	v_cvt_f32_i32_e32 v32, v32
	v_mul_f32_e32 v31, v8, v31
	v_mul_f32_e32 v22, v9, v22
	v_lshlrev_b32_e32 v146, 18, v33
	v_lshlrev_b32_e32 v33, 25, v33
	v_and_b32_e32 v144, 16, v144
	v_and_b32_e32 v145, 0x1000, v145
	v_mul_f32_e32 v22, 0x3e000000, v22
	v_and_b32_e32 v146, 0x100000, v146
	v_and_b32_e32 v33, 0x10000000, v33
	v_fma_f32 v32, v31, v32, v22
	v_or3_b32 v33, v146, v33, v144
	v_add_f32_e32 v29, v29, v32
	global_load_dword v32, v[20:21], off offset:88
	s_waitcnt vmcnt(0)
	v_and_b32_e32 v32, 0xf0f0f0f, v32
	v_or3_b32 v32, v33, v145, v32
	v_mov_b32_e32 v33, 0
	v_dot4c_i32_i8 v33, v32, v47
	v_cvt_f32_i32_e32 v32, v33
	v_fma_f32 v32, v31, v32, v22
	v_add_f32_e32 v29, v29, v32
	v_ashrrev_i32_e32 v32, v74, v23
	v_ashrrev_i32_e32 v23, v95, v23
	v_lshlrev_b32_e32 v33, 4, v32
	v_lshlrev_b32_e32 v144, 11, v32
	;; [unrolled: 1-line block ×4, first 2 shown]
	v_and_b32_e32 v33, 16, v33
	v_and_b32_e32 v144, 0x1000, v144
	;; [unrolled: 1-line block ×4, first 2 shown]
	v_or3_b32 v30, v32, v30, v145
	v_mov_b32_e32 v32, 0
	v_or3_b32 v30, v30, v33, v144
	v_lshlrev_b32_e32 v33, 11, v23
	v_lshlrev_b32_e32 v144, 18, v23
	v_dot4c_i32_i8 v32, v30, v48
	v_and_b32_e32 v33, 0x1000, v33
	v_and_b32_e32 v144, 0x100000, v144
	v_cvt_f32_i32_e32 v30, v32
	v_fma_f32 v30, v31, v30, v22
	v_add_f32_e32 v32, v30, v29
	v_add_co_u32 v29, vcc_lo, v18, v93
	v_add_co_ci_u32_e64 v30, null, 0, v19, vcc_lo
	global_load_dword v29, v[29:30], off offset:80
	v_lshlrev_b32_e32 v30, 4, v23
	v_lshlrev_b32_e32 v23, 25, v23
	v_and_b32_e32 v30, 16, v30
	v_and_b32_e32 v23, 0x10000000, v23
	v_or3_b32 v23, v144, v23, v30
	global_load_dword v30, v[20:21], off offset:104
	s_waitcnt vmcnt(1)
	v_lshrrev_b32_e32 v29, 4, v29
	v_and_b32_e32 v29, 0xf0f0f0f, v29
	v_or3_b32 v23, v23, v33, v29
	v_mov_b32_e32 v29, 0
	v_dot4c_i32_i8 v29, v23, v49
	v_cvt_f32_i32_e32 v23, v29
	v_fmac_f32_e32 v22, v31, v23
	v_add_f32_e32 v29, v32, v22
	global_load_dwordx2 v[22:23], v[18:19], off offset:96
	s_waitcnt vmcnt(1)
	v_and_b32_e32 v31, 0xf0f0f0f, v30
	v_lshrrev_b32_e32 v30, 4, v30
	v_and_b32_e32 v30, 0xf0f0f0f, v30
	s_waitcnt vmcnt(0)
	v_ashrrev_i32_e32 v32, v71, v23
	v_lshlrev_b32_e32 v33, 4, v32
	v_lshlrev_b32_e32 v144, 11, v32
	;; [unrolled: 1-line block ×4, first 2 shown]
	v_and_b32_e32 v33, 16, v33
	v_and_b32_e32 v144, 0x1000, v144
	;; [unrolled: 1-line block ×4, first 2 shown]
	v_or3_b32 v31, v32, v31, v145
	v_mov_b32_e32 v32, 0
	v_or3_b32 v31, v31, v33, v144
	v_ashrrev_i32_e32 v33, v73, v23
	v_dot4c_i32_i8 v32, v31, v50
	v_cvt_f32_f16_e32 v31, v22
	v_cvt_f32_f16_sdwa v22, v22 dst_sel:DWORD dst_unused:UNUSED_PAD src0_sel:WORD_1
	v_lshlrev_b32_e32 v144, 4, v33
	v_lshlrev_b32_e32 v145, 11, v33
	v_cvt_f32_i32_e32 v32, v32
	v_mul_f32_e32 v31, v10, v31
	v_mul_f32_e32 v22, v11, v22
	v_lshlrev_b32_e32 v146, 18, v33
	v_lshlrev_b32_e32 v33, 25, v33
	v_and_b32_e32 v144, 16, v144
	v_and_b32_e32 v145, 0x1000, v145
	v_mul_f32_e32 v22, 0x3e000000, v22
	v_and_b32_e32 v146, 0x100000, v146
	v_and_b32_e32 v33, 0x10000000, v33
	v_fma_f32 v32, v31, v32, v22
	v_or3_b32 v33, v146, v33, v144
	v_add_f32_e32 v29, v29, v32
	global_load_dword v32, v[20:21], off offset:112
	s_waitcnt vmcnt(0)
	v_and_b32_e32 v32, 0xf0f0f0f, v32
	v_or3_b32 v32, v33, v145, v32
	v_mov_b32_e32 v33, 0
	v_dot4c_i32_i8 v33, v32, v51
	v_cvt_f32_i32_e32 v32, v33
	v_fma_f32 v32, v31, v32, v22
	v_add_f32_e32 v29, v29, v32
	v_ashrrev_i32_e32 v32, v74, v23
	v_ashrrev_i32_e32 v23, v97, v23
	v_lshlrev_b32_e32 v33, 4, v32
	v_lshlrev_b32_e32 v144, 11, v32
	;; [unrolled: 1-line block ×4, first 2 shown]
	v_and_b32_e32 v33, 16, v33
	v_and_b32_e32 v144, 0x1000, v144
	;; [unrolled: 1-line block ×4, first 2 shown]
	v_or3_b32 v30, v32, v30, v145
	v_mov_b32_e32 v32, 0
	v_or3_b32 v30, v30, v33, v144
	v_lshlrev_b32_e32 v33, 11, v23
	v_lshlrev_b32_e32 v144, 18, v23
	v_dot4c_i32_i8 v32, v30, v52
	v_and_b32_e32 v33, 0x1000, v33
	v_and_b32_e32 v144, 0x100000, v144
	v_cvt_f32_i32_e32 v30, v32
	v_fma_f32 v30, v31, v30, v22
	v_add_f32_e32 v32, v30, v29
	v_add_co_u32 v29, vcc_lo, v18, v96
	v_add_co_ci_u32_e64 v30, null, 0, v19, vcc_lo
	global_load_dword v29, v[29:30], off offset:104
	v_lshlrev_b32_e32 v30, 4, v23
	v_lshlrev_b32_e32 v23, 25, v23
	v_and_b32_e32 v30, 16, v30
	v_and_b32_e32 v23, 0x10000000, v23
	v_or3_b32 v23, v144, v23, v30
	global_load_dword v30, v[20:21], off offset:128
	s_waitcnt vmcnt(1)
	v_lshrrev_b32_e32 v29, 4, v29
	v_and_b32_e32 v29, 0xf0f0f0f, v29
	v_or3_b32 v23, v23, v33, v29
	v_mov_b32_e32 v29, 0
	v_dot4c_i32_i8 v29, v23, v53
	v_cvt_f32_i32_e32 v23, v29
	v_fmac_f32_e32 v22, v31, v23
	v_add_f32_e32 v29, v32, v22
	global_load_dwordx2 v[22:23], v[18:19], off offset:120
	s_waitcnt vmcnt(1)
	v_and_b32_e32 v31, 0xf0f0f0f, v30
	v_lshrrev_b32_e32 v30, 4, v30
	v_and_b32_e32 v30, 0xf0f0f0f, v30
	s_waitcnt vmcnt(0)
	v_ashrrev_i32_e32 v32, v71, v23
	v_lshlrev_b32_e32 v33, 4, v32
	v_lshlrev_b32_e32 v144, 11, v32
	;; [unrolled: 1-line block ×4, first 2 shown]
	v_and_b32_e32 v33, 16, v33
	v_and_b32_e32 v144, 0x1000, v144
	;; [unrolled: 1-line block ×4, first 2 shown]
	v_or3_b32 v31, v32, v31, v145
	v_mov_b32_e32 v32, 0
	v_or3_b32 v31, v31, v33, v144
	v_ashrrev_i32_e32 v33, v73, v23
	v_dot4c_i32_i8 v32, v31, v54
	v_cvt_f32_f16_e32 v31, v22
	v_cvt_f32_f16_sdwa v22, v22 dst_sel:DWORD dst_unused:UNUSED_PAD src0_sel:WORD_1
	v_lshlrev_b32_e32 v144, 4, v33
	v_lshlrev_b32_e32 v145, 11, v33
	v_cvt_f32_i32_e32 v32, v32
	v_mul_f32_e32 v31, v12, v31
	v_mul_f32_e32 v22, v13, v22
	v_lshlrev_b32_e32 v146, 18, v33
	v_lshlrev_b32_e32 v33, 25, v33
	v_and_b32_e32 v144, 16, v144
	v_and_b32_e32 v145, 0x1000, v145
	v_mul_f32_e32 v22, 0x3e000000, v22
	v_and_b32_e32 v146, 0x100000, v146
	v_and_b32_e32 v33, 0x10000000, v33
	v_fma_f32 v32, v31, v32, v22
	v_or3_b32 v33, v146, v33, v144
	v_add_f32_e32 v29, v29, v32
	global_load_dword v32, v[20:21], off offset:136
	s_waitcnt vmcnt(0)
	v_and_b32_e32 v32, 0xf0f0f0f, v32
	v_or3_b32 v32, v33, v145, v32
	v_mov_b32_e32 v33, 0
	v_dot4c_i32_i8 v33, v32, v55
	v_cvt_f32_i32_e32 v32, v33
	v_fma_f32 v32, v31, v32, v22
	v_add_f32_e32 v29, v29, v32
	v_ashrrev_i32_e32 v32, v74, v23
	v_ashrrev_i32_e32 v23, v100, v23
	v_lshlrev_b32_e32 v33, 4, v32
	v_lshlrev_b32_e32 v144, 11, v32
	;; [unrolled: 1-line block ×4, first 2 shown]
	v_and_b32_e32 v33, 16, v33
	v_and_b32_e32 v144, 0x1000, v144
	;; [unrolled: 1-line block ×4, first 2 shown]
	v_or3_b32 v30, v32, v30, v145
	v_mov_b32_e32 v32, 0
	v_or3_b32 v30, v30, v33, v144
	v_lshlrev_b32_e32 v33, 11, v23
	v_lshlrev_b32_e32 v144, 18, v23
	v_dot4c_i32_i8 v32, v30, v56
	v_and_b32_e32 v33, 0x1000, v33
	v_and_b32_e32 v144, 0x100000, v144
	v_cvt_f32_i32_e32 v30, v32
	v_fma_f32 v30, v31, v30, v22
	v_add_f32_e32 v32, v30, v29
	v_add_co_u32 v29, vcc_lo, v18, v98
	v_add_co_ci_u32_e64 v30, null, 0, v19, vcc_lo
	global_load_dword v29, v[29:30], off offset:128
	v_lshlrev_b32_e32 v30, 4, v23
	v_lshlrev_b32_e32 v23, 25, v23
	v_and_b32_e32 v30, 16, v30
	v_and_b32_e32 v23, 0x10000000, v23
	v_or3_b32 v23, v144, v23, v30
	global_load_dword v30, v[20:21], off offset:152
	s_waitcnt vmcnt(1)
	v_lshrrev_b32_e32 v29, 4, v29
	v_and_b32_e32 v29, 0xf0f0f0f, v29
	v_or3_b32 v23, v23, v33, v29
	v_mov_b32_e32 v29, 0
	v_dot4c_i32_i8 v29, v23, v57
	v_cvt_f32_i32_e32 v23, v29
	v_fmac_f32_e32 v22, v31, v23
	v_add_f32_e32 v29, v32, v22
	global_load_dwordx2 v[22:23], v[18:19], off offset:144
	s_waitcnt vmcnt(1)
	v_and_b32_e32 v31, 0xf0f0f0f, v30
	v_lshrrev_b32_e32 v30, 4, v30
	v_and_b32_e32 v30, 0xf0f0f0f, v30
	s_waitcnt vmcnt(0)
	v_ashrrev_i32_e32 v32, v71, v23
	v_lshlrev_b32_e32 v33, 4, v32
	v_lshlrev_b32_e32 v144, 11, v32
	;; [unrolled: 1-line block ×4, first 2 shown]
	v_and_b32_e32 v33, 16, v33
	v_and_b32_e32 v144, 0x1000, v144
	;; [unrolled: 1-line block ×4, first 2 shown]
	v_or3_b32 v31, v32, v31, v145
	v_mov_b32_e32 v32, 0
	v_or3_b32 v31, v31, v33, v144
	v_ashrrev_i32_e32 v33, v73, v23
	v_dot4c_i32_i8 v32, v31, v58
	v_cvt_f32_f16_e32 v31, v22
	v_cvt_f32_f16_sdwa v22, v22 dst_sel:DWORD dst_unused:UNUSED_PAD src0_sel:WORD_1
	v_lshlrev_b32_e32 v144, 4, v33
	v_lshlrev_b32_e32 v145, 11, v33
	v_cvt_f32_i32_e32 v32, v32
	v_mul_f32_e32 v31, v14, v31
	v_mul_f32_e32 v22, v15, v22
	v_lshlrev_b32_e32 v146, 18, v33
	v_lshlrev_b32_e32 v33, 25, v33
	v_and_b32_e32 v144, 16, v144
	v_and_b32_e32 v145, 0x1000, v145
	v_mul_f32_e32 v22, 0x3e000000, v22
	v_and_b32_e32 v146, 0x100000, v146
	v_and_b32_e32 v33, 0x10000000, v33
	v_fma_f32 v32, v31, v32, v22
	v_or3_b32 v33, v146, v33, v144
	v_add_f32_e32 v29, v29, v32
	global_load_dword v32, v[20:21], off offset:160
	s_waitcnt vmcnt(0)
	v_and_b32_e32 v32, 0xf0f0f0f, v32
	v_or3_b32 v32, v33, v145, v32
	v_mov_b32_e32 v33, 0
	v_dot4c_i32_i8 v33, v32, v59
	v_cvt_f32_i32_e32 v32, v33
	v_fma_f32 v32, v31, v32, v22
	v_add_f32_e32 v29, v29, v32
	v_ashrrev_i32_e32 v32, v74, v23
	v_ashrrev_i32_e32 v23, v102, v23
	v_lshlrev_b32_e32 v33, 4, v32
	v_lshlrev_b32_e32 v144, 11, v32
	;; [unrolled: 1-line block ×4, first 2 shown]
	v_and_b32_e32 v33, 16, v33
	v_and_b32_e32 v144, 0x1000, v144
	;; [unrolled: 1-line block ×4, first 2 shown]
	v_or3_b32 v30, v32, v30, v145
	v_mov_b32_e32 v32, 0
	v_or3_b32 v30, v30, v33, v144
	v_lshlrev_b32_e32 v33, 11, v23
	v_lshlrev_b32_e32 v144, 18, v23
	v_dot4c_i32_i8 v32, v30, v60
	v_and_b32_e32 v33, 0x1000, v33
	v_and_b32_e32 v144, 0x100000, v144
	v_cvt_f32_i32_e32 v30, v32
	v_fma_f32 v30, v31, v30, v22
	v_add_f32_e32 v32, v30, v29
	v_add_co_u32 v29, vcc_lo, v18, v101
	v_add_co_ci_u32_e64 v30, null, 0, v19, vcc_lo
	global_load_dword v29, v[29:30], off offset:152
	v_lshlrev_b32_e32 v30, 4, v23
	v_lshlrev_b32_e32 v23, 25, v23
	v_and_b32_e32 v30, 16, v30
	v_and_b32_e32 v23, 0x10000000, v23
	v_or3_b32 v23, v144, v23, v30
	s_waitcnt vmcnt(0)
	v_lshrrev_b32_e32 v29, 4, v29
	v_and_b32_e32 v29, 0xf0f0f0f, v29
	v_or3_b32 v23, v23, v33, v29
	v_mov_b32_e32 v29, 0
	v_dot4c_i32_i8 v29, v23, v61
	v_cvt_f32_i32_e32 v23, v29
	v_fmac_f32_e32 v22, v31, v23
	global_load_dword v31, v[20:21], off offset:176
	v_add_f32_e32 v30, v32, v22
	s_clause 0x1
	global_load_dwordx2 v[22:23], v[18:19], off offset:168
	global_load_dword v20, v[20:21], off offset:184
	v_add_co_u32 v18, vcc_lo, v18, v104
	v_add_co_ci_u32_e64 v19, null, 0, v19, vcc_lo
	s_and_b32 vcc_lo, exec_lo, s14
	global_load_dword v18, v[18:19], off offset:176
	s_waitcnt vmcnt(3)
	v_and_b32_e32 v29, 0xf0f0f0f, v31
	s_waitcnt vmcnt(2)
	v_ashrrev_i32_e32 v32, v71, v23
	v_ashrrev_i32_e32 v21, v73, v23
	s_waitcnt vmcnt(1)
	v_and_b32_e32 v20, 0xf0f0f0f, v20
	v_ashrrev_i32_e32 v19, v105, v23
	v_lshlrev_b32_e32 v33, 4, v32
	v_lshlrev_b32_e32 v144, 11, v32
	;; [unrolled: 1-line block ×4, first 2 shown]
	s_waitcnt vmcnt(0)
	v_lshrrev_b32_e32 v18, 4, v18
	v_and_b32_e32 v33, 16, v33
	v_and_b32_e32 v144, 0x1000, v144
	;; [unrolled: 1-line block ×5, first 2 shown]
	v_or3_b32 v29, v32, v29, v145
	v_mov_b32_e32 v32, 0
	v_or3_b32 v29, v29, v33, v144
	v_lshlrev_b32_e32 v33, 11, v21
	v_lshlrev_b32_e32 v144, 18, v21
	v_dot4c_i32_i8 v32, v29, v62
	v_cvt_f32_f16_e32 v29, v22
	v_cvt_f32_f16_sdwa v22, v22 dst_sel:DWORD dst_unused:UNUSED_PAD src0_sel:WORD_1
	v_and_b32_e32 v144, 0x100000, v144
	v_and_b32_e32 v33, 0x1000, v33
	v_cvt_f32_i32_e32 v32, v32
	v_mul_f32_e32 v29, v16, v29
	v_mul_f32_e32 v22, v17, v22
	;; [unrolled: 1-line block ×3, first 2 shown]
	v_fma_f32 v32, v29, v32, v22
	v_add_f32_e32 v30, v30, v32
	v_lshlrev_b32_e32 v32, 4, v21
	v_lshlrev_b32_e32 v21, 25, v21
	v_and_b32_e32 v32, 16, v32
	v_and_b32_e32 v21, 0x10000000, v21
	v_or3_b32 v21, v144, v21, v32
	v_or3_b32 v20, v21, v33, v20
	v_mov_b32_e32 v21, 0
	v_dot4c_i32_i8 v21, v20, v63
	v_cvt_f32_i32_e32 v20, v21
	v_lshrrev_b32_e32 v21, 4, v31
	v_fma_f32 v20, v29, v20, v22
	v_and_b32_e32 v21, 0xf0f0f0f, v21
	v_add_f32_e32 v20, v30, v20
	v_ashrrev_i32_e32 v30, v74, v23
	v_lshlrev_b32_e32 v23, 11, v19
	v_lshlrev_b32_e32 v31, 4, v30
	;; [unrolled: 1-line block ×5, first 2 shown]
	v_and_b32_e32 v23, 0x1000, v23
	v_and_b32_e32 v31, 16, v31
	v_and_b32_e32 v32, 0x1000, v32
	v_and_b32_e32 v33, 0x100000, v33
	v_and_b32_e32 v30, 0x10000000, v30
	v_or3_b32 v21, v30, v21, v33
	v_mov_b32_e32 v30, 0
	v_or3_b32 v21, v21, v31, v32
	v_dot4c_i32_i8 v30, v21, v64
	v_cvt_f32_i32_e32 v21, v30
	v_lshlrev_b32_e32 v30, 18, v19
	v_fma_f32 v21, v29, v21, v22
	v_and_b32_e32 v30, 0x100000, v30
	v_add_f32_e32 v20, v21, v20
	v_lshlrev_b32_e32 v21, 4, v19
	v_lshlrev_b32_e32 v19, 25, v19
	v_and_b32_e32 v21, 16, v21
	v_and_b32_e32 v19, 0x10000000, v19
	v_or3_b32 v19, v30, v19, v21
	v_lshlrev_b32_e32 v30, 1, v86
	v_or3_b32 v18, v19, v23, v18
	v_mov_b32_e32 v19, 0
	v_dot4c_i32_i8 v19, v18, v65
	v_cvt_f32_i32_e32 v18, v19
	v_fmac_f32_e32 v22, v29, v18
	v_add_f32_e32 v18, v20, v22
	ds_bpermute_b32 v19, v126, v18
	s_waitcnt lgkmcnt(0)
	v_add_f32_e32 v29, v18, v19
	s_cbranch_vccz .LBB23_17
; %bb.16:                               ;   in Loop: Header=BB23_15 Depth=1
	global_load_ushort v18, v30, s[10:11]
	s_waitcnt vmcnt(0)
	v_fma_mix_f32 v29, v67, v18, v29 op_sel_hi:[0,1,0]
.LBB23_17:                              ;   in Loop: Header=BB23_15 Depth=1
	v_ashrrev_i32_e32 v19, 31, v133
	v_add_co_u32 v18, vcc_lo, s24, v133
	v_add_co_ci_u32_e64 v19, null, s25, v19, vcc_lo
	v_add_co_u32 v20, vcc_lo, v18, v71
	v_add_co_ci_u32_e64 v21, null, 0, v19, vcc_lo
	s_clause 0x1
	global_load_dwordx2 v[22:23], v[18:19], off
	global_load_dword v31, v[20:21], off offset:8
	s_waitcnt vmcnt(1)
	v_ashrrev_i32_e32 v33, v71, v23
	s_waitcnt vmcnt(0)
	v_and_b32_e32 v32, 0xf0f0f0f, v31
	v_lshrrev_b32_e32 v31, 4, v31
	v_lshlrev_b32_e32 v144, 4, v33
	v_lshlrev_b32_e32 v145, 11, v33
	;; [unrolled: 1-line block ×4, first 2 shown]
	v_and_b32_e32 v31, 0xf0f0f0f, v31
	v_and_b32_e32 v144, 16, v144
	;; [unrolled: 1-line block ×5, first 2 shown]
	v_or3_b32 v32, v33, v32, v146
	v_mov_b32_e32 v33, 0
	v_or3_b32 v32, v32, v144, v145
	v_ashrrev_i32_e32 v145, v73, v23
	v_dot4c_i32_i8 v33, v32, v34
	v_cvt_f32_f16_e32 v32, v22
	v_lshlrev_b32_e32 v146, 4, v145
	v_lshlrev_b32_e32 v147, 11, v145
	;; [unrolled: 1-line block ×4, first 2 shown]
	v_mul_f32_e32 v144, v2, v32
	v_cvt_f32_i32_e32 v32, v33
	global_load_dword v33, v[20:21], off offset:16
	v_and_b32_e32 v146, 16, v146
	v_and_b32_e32 v148, 0x100000, v148
	;; [unrolled: 1-line block ×3, first 2 shown]
	v_cvt_f32_f16_sdwa v22, v22 dst_sel:DWORD dst_unused:UNUSED_PAD src0_sel:WORD_1
	v_and_b32_e32 v147, 0x1000, v147
	v_or3_b32 v145, v148, v145, v146
	v_mul_f32_e32 v22, v3, v22
	v_mul_f32_e32 v22, 0x3e000000, v22
	v_fma_f32 v32, v144, v32, v22
	v_add_f32_e32 v32, 0, v32
	s_waitcnt vmcnt(0)
	v_and_b32_e32 v33, 0xf0f0f0f, v33
	v_or3_b32 v33, v145, v147, v33
	v_mov_b32_e32 v145, 0
	v_dot4c_i32_i8 v145, v33, v35
	v_cvt_f32_i32_e32 v33, v145
	v_fma_f32 v33, v144, v33, v22
	v_add_f32_e32 v32, v32, v33
	v_ashrrev_i32_e32 v33, v74, v23
	v_ashrrev_i32_e32 v23, v72, v23
	v_lshlrev_b32_e32 v145, 4, v33
	v_lshlrev_b32_e32 v146, 11, v33
	;; [unrolled: 1-line block ×4, first 2 shown]
	v_and_b32_e32 v145, 16, v145
	v_and_b32_e32 v146, 0x1000, v146
	;; [unrolled: 1-line block ×4, first 2 shown]
	v_or3_b32 v31, v33, v31, v147
	v_mov_b32_e32 v33, 0
	v_or3_b32 v31, v31, v145, v146
	v_lshlrev_b32_e32 v145, 11, v23
	v_lshlrev_b32_e32 v146, 18, v23
	v_dot4c_i32_i8 v33, v31, v36
	v_and_b32_e32 v145, 0x1000, v145
	v_and_b32_e32 v146, 0x100000, v146
	v_cvt_f32_i32_e32 v31, v33
	v_fma_f32 v31, v144, v31, v22
	v_add_f32_e32 v33, v31, v32
	v_add_co_u32 v31, vcc_lo, v18, v87
	v_add_co_ci_u32_e64 v32, null, 0, v19, vcc_lo
	global_load_dword v31, v[31:32], off offset:8
	v_lshlrev_b32_e32 v32, 4, v23
	v_lshlrev_b32_e32 v23, 25, v23
	v_and_b32_e32 v32, 16, v32
	v_and_b32_e32 v23, 0x10000000, v23
	v_or3_b32 v23, v146, v23, v32
	global_load_dword v32, v[20:21], off offset:32
	s_waitcnt vmcnt(1)
	v_lshrrev_b32_e32 v31, 4, v31
	v_and_b32_e32 v31, 0xf0f0f0f, v31
	v_or3_b32 v23, v23, v145, v31
	v_mov_b32_e32 v31, 0
	v_dot4c_i32_i8 v31, v23, v37
	v_cvt_f32_i32_e32 v23, v31
	v_fmac_f32_e32 v22, v144, v23
	v_add_f32_e32 v31, v33, v22
	global_load_dwordx2 v[22:23], v[18:19], off offset:24
	s_waitcnt vmcnt(1)
	v_and_b32_e32 v33, 0xf0f0f0f, v32
	v_lshrrev_b32_e32 v32, 4, v32
	v_and_b32_e32 v32, 0xf0f0f0f, v32
	s_waitcnt vmcnt(0)
	v_ashrrev_i32_e32 v144, v71, v23
	v_lshlrev_b32_e32 v145, 4, v144
	v_lshlrev_b32_e32 v146, 11, v144
	;; [unrolled: 1-line block ×4, first 2 shown]
	v_and_b32_e32 v145, 16, v145
	v_and_b32_e32 v146, 0x1000, v146
	;; [unrolled: 1-line block ×4, first 2 shown]
	v_or3_b32 v33, v144, v33, v147
	v_mov_b32_e32 v144, 0
	v_or3_b32 v33, v33, v145, v146
	v_ashrrev_i32_e32 v145, v73, v23
	v_dot4c_i32_i8 v144, v33, v38
	v_cvt_f32_f16_e32 v33, v22
	v_cvt_f32_f16_sdwa v22, v22 dst_sel:DWORD dst_unused:UNUSED_PAD src0_sel:WORD_1
	v_lshlrev_b32_e32 v146, 4, v145
	v_lshlrev_b32_e32 v147, 11, v145
	v_cvt_f32_i32_e32 v144, v144
	v_mul_f32_e32 v33, v4, v33
	v_mul_f32_e32 v22, v5, v22
	v_lshlrev_b32_e32 v148, 18, v145
	v_lshlrev_b32_e32 v145, 25, v145
	v_and_b32_e32 v146, 16, v146
	v_and_b32_e32 v147, 0x1000, v147
	v_mul_f32_e32 v22, 0x3e000000, v22
	v_and_b32_e32 v148, 0x100000, v148
	v_and_b32_e32 v145, 0x10000000, v145
	v_fma_f32 v144, v33, v144, v22
	v_or3_b32 v145, v148, v145, v146
	v_add_f32_e32 v31, v31, v144
	global_load_dword v144, v[20:21], off offset:40
	s_waitcnt vmcnt(0)
	v_and_b32_e32 v144, 0xf0f0f0f, v144
	v_or3_b32 v144, v145, v147, v144
	v_mov_b32_e32 v145, 0
	v_dot4c_i32_i8 v145, v144, v39
	v_cvt_f32_i32_e32 v144, v145
	v_fma_f32 v144, v33, v144, v22
	v_add_f32_e32 v31, v31, v144
	v_ashrrev_i32_e32 v144, v74, v23
	v_ashrrev_i32_e32 v23, v90, v23
	v_lshlrev_b32_e32 v145, 4, v144
	v_lshlrev_b32_e32 v146, 11, v144
	;; [unrolled: 1-line block ×4, first 2 shown]
	v_and_b32_e32 v145, 16, v145
	v_and_b32_e32 v146, 0x1000, v146
	;; [unrolled: 1-line block ×4, first 2 shown]
	v_or3_b32 v32, v144, v32, v147
	v_mov_b32_e32 v144, 0
	v_or3_b32 v32, v32, v145, v146
	v_lshlrev_b32_e32 v145, 11, v23
	v_lshlrev_b32_e32 v146, 18, v23
	v_dot4c_i32_i8 v144, v32, v40
	v_and_b32_e32 v145, 0x1000, v145
	v_and_b32_e32 v146, 0x100000, v146
	v_cvt_f32_i32_e32 v32, v144
	v_fma_f32 v32, v33, v32, v22
	v_add_f32_e32 v144, v32, v31
	v_add_co_u32 v31, vcc_lo, v18, v88
	v_add_co_ci_u32_e64 v32, null, 0, v19, vcc_lo
	global_load_dword v31, v[31:32], off offset:32
	v_lshlrev_b32_e32 v32, 4, v23
	v_lshlrev_b32_e32 v23, 25, v23
	v_and_b32_e32 v32, 16, v32
	v_and_b32_e32 v23, 0x10000000, v23
	v_or3_b32 v23, v146, v23, v32
	global_load_dword v32, v[20:21], off offset:56
	s_waitcnt vmcnt(1)
	v_lshrrev_b32_e32 v31, 4, v31
	v_and_b32_e32 v31, 0xf0f0f0f, v31
	v_or3_b32 v23, v23, v145, v31
	v_mov_b32_e32 v31, 0
	v_dot4c_i32_i8 v31, v23, v41
	v_cvt_f32_i32_e32 v23, v31
	v_fmac_f32_e32 v22, v33, v23
	v_add_f32_e32 v31, v144, v22
	global_load_dwordx2 v[22:23], v[18:19], off offset:48
	s_waitcnt vmcnt(1)
	v_and_b32_e32 v33, 0xf0f0f0f, v32
	v_lshrrev_b32_e32 v32, 4, v32
	v_and_b32_e32 v32, 0xf0f0f0f, v32
	s_waitcnt vmcnt(0)
	v_ashrrev_i32_e32 v144, v71, v23
	v_lshlrev_b32_e32 v145, 4, v144
	v_lshlrev_b32_e32 v146, 11, v144
	;; [unrolled: 1-line block ×4, first 2 shown]
	v_and_b32_e32 v145, 16, v145
	v_and_b32_e32 v146, 0x1000, v146
	;; [unrolled: 1-line block ×4, first 2 shown]
	v_or3_b32 v33, v144, v33, v147
	v_mov_b32_e32 v144, 0
	v_or3_b32 v33, v33, v145, v146
	v_ashrrev_i32_e32 v145, v73, v23
	v_dot4c_i32_i8 v144, v33, v42
	v_cvt_f32_f16_e32 v33, v22
	v_cvt_f32_f16_sdwa v22, v22 dst_sel:DWORD dst_unused:UNUSED_PAD src0_sel:WORD_1
	v_lshlrev_b32_e32 v146, 4, v145
	v_lshlrev_b32_e32 v147, 11, v145
	v_cvt_f32_i32_e32 v144, v144
	v_mul_f32_e32 v33, v6, v33
	v_mul_f32_e32 v22, v7, v22
	v_lshlrev_b32_e32 v148, 18, v145
	v_lshlrev_b32_e32 v145, 25, v145
	v_and_b32_e32 v146, 16, v146
	v_and_b32_e32 v147, 0x1000, v147
	v_mul_f32_e32 v22, 0x3e000000, v22
	v_and_b32_e32 v148, 0x100000, v148
	v_and_b32_e32 v145, 0x10000000, v145
	v_fma_f32 v144, v33, v144, v22
	v_or3_b32 v145, v148, v145, v146
	v_add_f32_e32 v31, v31, v144
	global_load_dword v144, v[20:21], off offset:64
	s_waitcnt vmcnt(0)
	v_and_b32_e32 v144, 0xf0f0f0f, v144
	v_or3_b32 v144, v145, v147, v144
	v_mov_b32_e32 v145, 0
	v_dot4c_i32_i8 v145, v144, v43
	v_cvt_f32_i32_e32 v144, v145
	v_fma_f32 v144, v33, v144, v22
	v_add_f32_e32 v31, v31, v144
	v_ashrrev_i32_e32 v144, v74, v23
	v_ashrrev_i32_e32 v23, v92, v23
	v_lshlrev_b32_e32 v145, 4, v144
	v_lshlrev_b32_e32 v146, 11, v144
	;; [unrolled: 1-line block ×4, first 2 shown]
	v_and_b32_e32 v145, 16, v145
	v_and_b32_e32 v146, 0x1000, v146
	;; [unrolled: 1-line block ×4, first 2 shown]
	v_or3_b32 v32, v144, v32, v147
	v_mov_b32_e32 v144, 0
	v_or3_b32 v32, v32, v145, v146
	v_lshlrev_b32_e32 v145, 11, v23
	v_lshlrev_b32_e32 v146, 18, v23
	v_dot4c_i32_i8 v144, v32, v44
	v_and_b32_e32 v145, 0x1000, v145
	v_and_b32_e32 v146, 0x100000, v146
	v_cvt_f32_i32_e32 v32, v144
	v_fma_f32 v32, v33, v32, v22
	v_add_f32_e32 v144, v32, v31
	v_add_co_u32 v31, vcc_lo, v18, v91
	v_add_co_ci_u32_e64 v32, null, 0, v19, vcc_lo
	global_load_dword v31, v[31:32], off offset:56
	v_lshlrev_b32_e32 v32, 4, v23
	v_lshlrev_b32_e32 v23, 25, v23
	v_and_b32_e32 v32, 16, v32
	v_and_b32_e32 v23, 0x10000000, v23
	v_or3_b32 v23, v146, v23, v32
	s_waitcnt vmcnt(0)
	v_lshrrev_b32_e32 v31, 4, v31
	v_and_b32_e32 v31, 0xf0f0f0f, v31
	v_or3_b32 v23, v23, v145, v31
	v_mov_b32_e32 v31, 0
	v_dot4c_i32_i8 v31, v23, v45
	v_cvt_f32_i32_e32 v23, v31
	global_load_dwordx2 v[31:32], v[18:19], off offset:72
	v_fmac_f32_e32 v22, v33, v23
	v_add_f32_e32 v23, v144, v22
	global_load_dword v22, v[20:21], off offset:80
	s_waitcnt vmcnt(1)
	v_ashrrev_i32_e32 v144, v71, v32
	v_lshlrev_b32_e32 v145, 4, v144
	v_lshlrev_b32_e32 v146, 11, v144
	;; [unrolled: 1-line block ×4, first 2 shown]
	s_waitcnt vmcnt(0)
	v_and_b32_e32 v33, 0xf0f0f0f, v22
	v_and_b32_e32 v145, 16, v145
	v_and_b32_e32 v147, 0x100000, v147
	v_and_b32_e32 v144, 0x10000000, v144
	v_and_b32_e32 v146, 0x1000, v146
	v_lshrrev_b32_e32 v22, 4, v22
	v_or3_b32 v33, v144, v33, v147
	v_mov_b32_e32 v144, 0
	v_and_b32_e32 v22, 0xf0f0f0f, v22
	v_or3_b32 v33, v33, v145, v146
	v_ashrrev_i32_e32 v145, v73, v32
	v_dot4c_i32_i8 v144, v33, v46
	v_cvt_f32_f16_e32 v33, v31
	v_cvt_f32_f16_sdwa v31, v31 dst_sel:DWORD dst_unused:UNUSED_PAD src0_sel:WORD_1
	v_lshlrev_b32_e32 v146, 4, v145
	v_lshlrev_b32_e32 v147, 11, v145
	v_cvt_f32_i32_e32 v144, v144
	v_mul_f32_e32 v33, v8, v33
	v_mul_f32_e32 v31, v9, v31
	v_lshlrev_b32_e32 v148, 18, v145
	v_lshlrev_b32_e32 v145, 25, v145
	v_and_b32_e32 v146, 16, v146
	v_and_b32_e32 v147, 0x1000, v147
	v_mul_f32_e32 v31, 0x3e000000, v31
	v_and_b32_e32 v148, 0x100000, v148
	v_and_b32_e32 v145, 0x10000000, v145
	v_fma_f32 v144, v33, v144, v31
	v_or3_b32 v145, v148, v145, v146
	v_add_f32_e32 v23, v23, v144
	global_load_dword v144, v[20:21], off offset:88
	s_waitcnt vmcnt(0)
	v_and_b32_e32 v144, 0xf0f0f0f, v144
	v_or3_b32 v144, v145, v147, v144
	v_mov_b32_e32 v145, 0
	v_dot4c_i32_i8 v145, v144, v47
	v_cvt_f32_i32_e32 v144, v145
	v_fma_f32 v144, v33, v144, v31
	v_add_f32_e32 v23, v23, v144
	v_ashrrev_i32_e32 v144, v74, v32
	v_lshlrev_b32_e32 v145, 4, v144
	v_lshlrev_b32_e32 v146, 11, v144
	;; [unrolled: 1-line block ×4, first 2 shown]
	v_and_b32_e32 v145, 16, v145
	v_and_b32_e32 v146, 0x1000, v146
	;; [unrolled: 1-line block ×4, first 2 shown]
	v_or3_b32 v22, v144, v22, v147
	v_mov_b32_e32 v144, 0
	v_or3_b32 v22, v22, v145, v146
	v_dot4c_i32_i8 v144, v22, v48
	v_cvt_f32_i32_e32 v22, v144
	v_fma_f32 v22, v33, v22, v31
	v_add_f32_e32 v144, v22, v23
	v_add_co_u32 v22, vcc_lo, v18, v93
	v_add_co_ci_u32_e64 v23, null, 0, v19, vcc_lo
	global_load_dword v22, v[22:23], off offset:80
	v_ashrrev_i32_e32 v23, v95, v32
	v_lshlrev_b32_e32 v32, 4, v23
	v_lshlrev_b32_e32 v145, 11, v23
	v_lshlrev_b32_e32 v146, 18, v23
	v_lshlrev_b32_e32 v23, 25, v23
	v_and_b32_e32 v32, 16, v32
	v_and_b32_e32 v145, 0x1000, v145
	;; [unrolled: 1-line block ×4, first 2 shown]
	v_or3_b32 v23, v146, v23, v32
	global_load_dword v32, v[20:21], off offset:104
	s_waitcnt vmcnt(1)
	v_lshrrev_b32_e32 v22, 4, v22
	v_and_b32_e32 v22, 0xf0f0f0f, v22
	v_or3_b32 v22, v23, v145, v22
	v_mov_b32_e32 v23, 0
	v_dot4c_i32_i8 v23, v22, v49
	v_cvt_f32_i32_e32 v22, v23
	v_fmac_f32_e32 v31, v33, v22
	global_load_dwordx2 v[22:23], v[18:19], off offset:96
	s_waitcnt vmcnt(1)
	v_and_b32_e32 v33, 0xf0f0f0f, v32
	v_lshrrev_b32_e32 v32, 4, v32
	v_add_f32_e32 v31, v144, v31
	v_and_b32_e32 v32, 0xf0f0f0f, v32
	s_waitcnt vmcnt(0)
	v_ashrrev_i32_e32 v144, v71, v23
	v_lshlrev_b32_e32 v145, 4, v144
	v_lshlrev_b32_e32 v146, 11, v144
	;; [unrolled: 1-line block ×4, first 2 shown]
	v_and_b32_e32 v145, 16, v145
	v_and_b32_e32 v146, 0x1000, v146
	;; [unrolled: 1-line block ×4, first 2 shown]
	v_or3_b32 v33, v144, v33, v147
	v_mov_b32_e32 v144, 0
	v_or3_b32 v33, v33, v145, v146
	v_ashrrev_i32_e32 v145, v73, v23
	v_dot4c_i32_i8 v144, v33, v50
	v_cvt_f32_f16_e32 v33, v22
	v_cvt_f32_f16_sdwa v22, v22 dst_sel:DWORD dst_unused:UNUSED_PAD src0_sel:WORD_1
	v_lshlrev_b32_e32 v146, 4, v145
	v_lshlrev_b32_e32 v147, 11, v145
	v_cvt_f32_i32_e32 v144, v144
	v_mul_f32_e32 v33, v10, v33
	v_mul_f32_e32 v22, v11, v22
	v_lshlrev_b32_e32 v148, 18, v145
	v_lshlrev_b32_e32 v145, 25, v145
	v_and_b32_e32 v146, 16, v146
	v_and_b32_e32 v147, 0x1000, v147
	v_mul_f32_e32 v22, 0x3e000000, v22
	v_and_b32_e32 v148, 0x100000, v148
	v_and_b32_e32 v145, 0x10000000, v145
	v_fma_f32 v144, v33, v144, v22
	v_or3_b32 v145, v148, v145, v146
	v_add_f32_e32 v31, v31, v144
	global_load_dword v144, v[20:21], off offset:112
	s_waitcnt vmcnt(0)
	v_and_b32_e32 v144, 0xf0f0f0f, v144
	v_or3_b32 v144, v145, v147, v144
	v_mov_b32_e32 v145, 0
	v_dot4c_i32_i8 v145, v144, v51
	v_cvt_f32_i32_e32 v144, v145
	v_fma_f32 v144, v33, v144, v22
	v_add_f32_e32 v31, v31, v144
	v_ashrrev_i32_e32 v144, v74, v23
	v_ashrrev_i32_e32 v23, v97, v23
	v_lshlrev_b32_e32 v145, 4, v144
	v_lshlrev_b32_e32 v146, 11, v144
	;; [unrolled: 1-line block ×4, first 2 shown]
	v_and_b32_e32 v145, 16, v145
	v_and_b32_e32 v146, 0x1000, v146
	;; [unrolled: 1-line block ×4, first 2 shown]
	v_or3_b32 v32, v144, v32, v147
	v_mov_b32_e32 v144, 0
	v_or3_b32 v32, v32, v145, v146
	v_lshlrev_b32_e32 v145, 11, v23
	v_lshlrev_b32_e32 v146, 18, v23
	v_dot4c_i32_i8 v144, v32, v52
	v_and_b32_e32 v145, 0x1000, v145
	v_and_b32_e32 v146, 0x100000, v146
	v_cvt_f32_i32_e32 v32, v144
	v_fma_f32 v32, v33, v32, v22
	v_add_f32_e32 v144, v32, v31
	v_add_co_u32 v31, vcc_lo, v18, v96
	v_add_co_ci_u32_e64 v32, null, 0, v19, vcc_lo
	global_load_dword v31, v[31:32], off offset:104
	v_lshlrev_b32_e32 v32, 4, v23
	v_lshlrev_b32_e32 v23, 25, v23
	v_and_b32_e32 v32, 16, v32
	v_and_b32_e32 v23, 0x10000000, v23
	v_or3_b32 v23, v146, v23, v32
	global_load_dword v32, v[20:21], off offset:128
	s_waitcnt vmcnt(1)
	v_lshrrev_b32_e32 v31, 4, v31
	v_and_b32_e32 v31, 0xf0f0f0f, v31
	v_or3_b32 v23, v23, v145, v31
	v_mov_b32_e32 v31, 0
	v_dot4c_i32_i8 v31, v23, v53
	v_cvt_f32_i32_e32 v23, v31
	v_fmac_f32_e32 v22, v33, v23
	v_add_f32_e32 v31, v144, v22
	global_load_dwordx2 v[22:23], v[18:19], off offset:120
	s_waitcnt vmcnt(1)
	v_and_b32_e32 v33, 0xf0f0f0f, v32
	v_lshrrev_b32_e32 v32, 4, v32
	v_and_b32_e32 v32, 0xf0f0f0f, v32
	s_waitcnt vmcnt(0)
	v_ashrrev_i32_e32 v144, v71, v23
	v_lshlrev_b32_e32 v145, 4, v144
	v_lshlrev_b32_e32 v146, 11, v144
	v_lshlrev_b32_e32 v147, 18, v144
	v_lshlrev_b32_e32 v144, 25, v144
	v_and_b32_e32 v145, 16, v145
	v_and_b32_e32 v146, 0x1000, v146
	;; [unrolled: 1-line block ×4, first 2 shown]
	v_or3_b32 v33, v144, v33, v147
	v_mov_b32_e32 v144, 0
	v_or3_b32 v33, v33, v145, v146
	v_ashrrev_i32_e32 v145, v73, v23
	v_dot4c_i32_i8 v144, v33, v54
	v_cvt_f32_f16_e32 v33, v22
	v_cvt_f32_f16_sdwa v22, v22 dst_sel:DWORD dst_unused:UNUSED_PAD src0_sel:WORD_1
	v_lshlrev_b32_e32 v146, 4, v145
	v_lshlrev_b32_e32 v147, 11, v145
	v_cvt_f32_i32_e32 v144, v144
	v_mul_f32_e32 v33, v12, v33
	v_mul_f32_e32 v22, v13, v22
	v_lshlrev_b32_e32 v148, 18, v145
	v_lshlrev_b32_e32 v145, 25, v145
	v_and_b32_e32 v146, 16, v146
	v_and_b32_e32 v147, 0x1000, v147
	v_mul_f32_e32 v22, 0x3e000000, v22
	v_and_b32_e32 v148, 0x100000, v148
	v_and_b32_e32 v145, 0x10000000, v145
	v_fma_f32 v144, v33, v144, v22
	v_or3_b32 v145, v148, v145, v146
	v_add_f32_e32 v31, v31, v144
	global_load_dword v144, v[20:21], off offset:136
	s_waitcnt vmcnt(0)
	v_and_b32_e32 v144, 0xf0f0f0f, v144
	v_or3_b32 v144, v145, v147, v144
	v_mov_b32_e32 v145, 0
	v_dot4c_i32_i8 v145, v144, v55
	v_cvt_f32_i32_e32 v144, v145
	v_fma_f32 v144, v33, v144, v22
	v_add_f32_e32 v31, v31, v144
	v_ashrrev_i32_e32 v144, v74, v23
	v_ashrrev_i32_e32 v23, v100, v23
	v_lshlrev_b32_e32 v145, 4, v144
	v_lshlrev_b32_e32 v146, 11, v144
	;; [unrolled: 1-line block ×4, first 2 shown]
	v_and_b32_e32 v145, 16, v145
	v_and_b32_e32 v146, 0x1000, v146
	v_and_b32_e32 v147, 0x100000, v147
	v_and_b32_e32 v144, 0x10000000, v144
	v_or3_b32 v32, v144, v32, v147
	v_mov_b32_e32 v144, 0
	v_or3_b32 v32, v32, v145, v146
	v_lshlrev_b32_e32 v145, 11, v23
	v_lshlrev_b32_e32 v146, 18, v23
	v_dot4c_i32_i8 v144, v32, v56
	v_and_b32_e32 v145, 0x1000, v145
	v_and_b32_e32 v146, 0x100000, v146
	v_cvt_f32_i32_e32 v32, v144
	v_fma_f32 v32, v33, v32, v22
	v_add_f32_e32 v144, v32, v31
	v_add_co_u32 v31, vcc_lo, v18, v98
	v_add_co_ci_u32_e64 v32, null, 0, v19, vcc_lo
	global_load_dword v31, v[31:32], off offset:128
	v_lshlrev_b32_e32 v32, 4, v23
	v_lshlrev_b32_e32 v23, 25, v23
	v_and_b32_e32 v32, 16, v32
	v_and_b32_e32 v23, 0x10000000, v23
	v_or3_b32 v23, v146, v23, v32
	global_load_dword v32, v[20:21], off offset:152
	s_waitcnt vmcnt(1)
	v_lshrrev_b32_e32 v31, 4, v31
	v_and_b32_e32 v31, 0xf0f0f0f, v31
	v_or3_b32 v23, v23, v145, v31
	v_mov_b32_e32 v31, 0
	v_dot4c_i32_i8 v31, v23, v57
	v_cvt_f32_i32_e32 v23, v31
	v_fmac_f32_e32 v22, v33, v23
	v_add_f32_e32 v31, v144, v22
	global_load_dwordx2 v[22:23], v[18:19], off offset:144
	s_waitcnt vmcnt(1)
	v_and_b32_e32 v33, 0xf0f0f0f, v32
	v_lshrrev_b32_e32 v32, 4, v32
	v_and_b32_e32 v32, 0xf0f0f0f, v32
	s_waitcnt vmcnt(0)
	v_ashrrev_i32_e32 v144, v71, v23
	v_lshlrev_b32_e32 v145, 4, v144
	v_lshlrev_b32_e32 v146, 11, v144
	;; [unrolled: 1-line block ×4, first 2 shown]
	v_and_b32_e32 v145, 16, v145
	v_and_b32_e32 v146, 0x1000, v146
	v_and_b32_e32 v147, 0x100000, v147
	v_and_b32_e32 v144, 0x10000000, v144
	v_or3_b32 v33, v144, v33, v147
	v_mov_b32_e32 v144, 0
	v_or3_b32 v33, v33, v145, v146
	v_ashrrev_i32_e32 v145, v73, v23
	v_dot4c_i32_i8 v144, v33, v58
	v_cvt_f32_f16_e32 v33, v22
	v_cvt_f32_f16_sdwa v22, v22 dst_sel:DWORD dst_unused:UNUSED_PAD src0_sel:WORD_1
	v_lshlrev_b32_e32 v146, 4, v145
	v_lshlrev_b32_e32 v147, 11, v145
	v_cvt_f32_i32_e32 v144, v144
	v_mul_f32_e32 v33, v14, v33
	v_mul_f32_e32 v22, v15, v22
	v_lshlrev_b32_e32 v148, 18, v145
	v_lshlrev_b32_e32 v145, 25, v145
	v_and_b32_e32 v146, 16, v146
	v_and_b32_e32 v147, 0x1000, v147
	v_mul_f32_e32 v22, 0x3e000000, v22
	v_and_b32_e32 v148, 0x100000, v148
	v_and_b32_e32 v145, 0x10000000, v145
	v_fma_f32 v144, v33, v144, v22
	v_or3_b32 v145, v148, v145, v146
	v_add_f32_e32 v31, v31, v144
	global_load_dword v144, v[20:21], off offset:160
	s_waitcnt vmcnt(0)
	v_and_b32_e32 v144, 0xf0f0f0f, v144
	v_or3_b32 v144, v145, v147, v144
	v_mov_b32_e32 v145, 0
	v_dot4c_i32_i8 v145, v144, v59
	v_cvt_f32_i32_e32 v144, v145
	v_fma_f32 v144, v33, v144, v22
	v_add_f32_e32 v31, v31, v144
	v_ashrrev_i32_e32 v144, v74, v23
	v_ashrrev_i32_e32 v23, v102, v23
	v_lshlrev_b32_e32 v145, 4, v144
	v_lshlrev_b32_e32 v146, 11, v144
	;; [unrolled: 1-line block ×4, first 2 shown]
	v_and_b32_e32 v145, 16, v145
	v_and_b32_e32 v146, 0x1000, v146
	;; [unrolled: 1-line block ×4, first 2 shown]
	v_or3_b32 v32, v144, v32, v147
	v_mov_b32_e32 v144, 0
	v_or3_b32 v32, v32, v145, v146
	v_lshlrev_b32_e32 v145, 11, v23
	v_lshlrev_b32_e32 v146, 18, v23
	v_dot4c_i32_i8 v144, v32, v60
	v_and_b32_e32 v145, 0x1000, v145
	v_and_b32_e32 v146, 0x100000, v146
	v_cvt_f32_i32_e32 v32, v144
	v_fma_f32 v32, v33, v32, v22
	v_add_f32_e32 v144, v32, v31
	v_add_co_u32 v31, vcc_lo, v18, v101
	v_add_co_ci_u32_e64 v32, null, 0, v19, vcc_lo
	global_load_dword v31, v[31:32], off offset:152
	v_lshlrev_b32_e32 v32, 4, v23
	v_lshlrev_b32_e32 v23, 25, v23
	v_and_b32_e32 v32, 16, v32
	v_and_b32_e32 v23, 0x10000000, v23
	v_or3_b32 v23, v146, v23, v32
	s_waitcnt vmcnt(0)
	v_lshrrev_b32_e32 v31, 4, v31
	v_and_b32_e32 v31, 0xf0f0f0f, v31
	v_or3_b32 v23, v23, v145, v31
	v_mov_b32_e32 v31, 0
	v_dot4c_i32_i8 v31, v23, v61
	v_cvt_f32_i32_e32 v23, v31
	v_fmac_f32_e32 v22, v33, v23
	global_load_dword v33, v[20:21], off offset:176
	v_add_f32_e32 v32, v144, v22
	s_clause 0x1
	global_load_dwordx2 v[22:23], v[18:19], off offset:168
	global_load_dword v20, v[20:21], off offset:184
	v_add_co_u32 v18, vcc_lo, v18, v104
	v_add_co_ci_u32_e64 v19, null, 0, v19, vcc_lo
	s_andn2_b32 vcc_lo, exec_lo, s14
	global_load_dword v18, v[18:19], off offset:176
	s_waitcnt vmcnt(3)
	v_and_b32_e32 v31, 0xf0f0f0f, v33
	s_waitcnt vmcnt(2)
	v_ashrrev_i32_e32 v144, v71, v23
	v_ashrrev_i32_e32 v21, v73, v23
	s_waitcnt vmcnt(1)
	v_and_b32_e32 v20, 0xf0f0f0f, v20
	v_ashrrev_i32_e32 v19, v105, v23
	v_lshlrev_b32_e32 v145, 4, v144
	v_lshlrev_b32_e32 v146, 11, v144
	;; [unrolled: 1-line block ×4, first 2 shown]
	s_waitcnt vmcnt(0)
	v_lshrrev_b32_e32 v18, 4, v18
	v_and_b32_e32 v145, 16, v145
	v_and_b32_e32 v146, 0x1000, v146
	;; [unrolled: 1-line block ×5, first 2 shown]
	v_or3_b32 v31, v144, v31, v147
	v_mov_b32_e32 v144, 0
	v_or3_b32 v31, v31, v145, v146
	v_lshlrev_b32_e32 v145, 11, v21
	v_lshlrev_b32_e32 v146, 18, v21
	v_dot4c_i32_i8 v144, v31, v62
	v_cvt_f32_f16_e32 v31, v22
	v_cvt_f32_f16_sdwa v22, v22 dst_sel:DWORD dst_unused:UNUSED_PAD src0_sel:WORD_1
	v_and_b32_e32 v146, 0x100000, v146
	v_and_b32_e32 v145, 0x1000, v145
	v_cvt_f32_i32_e32 v144, v144
	v_mul_f32_e32 v31, v16, v31
	v_mul_f32_e32 v22, v17, v22
	;; [unrolled: 1-line block ×3, first 2 shown]
	v_fma_f32 v144, v31, v144, v22
	v_add_f32_e32 v32, v32, v144
	v_lshlrev_b32_e32 v144, 4, v21
	v_lshlrev_b32_e32 v21, 25, v21
	v_and_b32_e32 v144, 16, v144
	v_and_b32_e32 v21, 0x10000000, v21
	v_or3_b32 v21, v146, v21, v144
	v_or3_b32 v20, v21, v145, v20
	v_mov_b32_e32 v21, 0
	v_dot4c_i32_i8 v21, v20, v63
	v_cvt_f32_i32_e32 v20, v21
	v_lshrrev_b32_e32 v21, 4, v33
	v_fma_f32 v20, v31, v20, v22
	v_and_b32_e32 v21, 0xf0f0f0f, v21
	v_add_f32_e32 v20, v32, v20
	v_ashrrev_i32_e32 v32, v74, v23
	v_lshlrev_b32_e32 v23, 11, v19
	v_lshlrev_b32_e32 v33, 4, v32
	;; [unrolled: 1-line block ×5, first 2 shown]
	v_and_b32_e32 v23, 0x1000, v23
	v_and_b32_e32 v33, 16, v33
	v_and_b32_e32 v144, 0x1000, v144
	v_and_b32_e32 v145, 0x100000, v145
	v_and_b32_e32 v32, 0x10000000, v32
	v_or3_b32 v21, v32, v21, v145
	v_mov_b32_e32 v32, 0
	v_or3_b32 v21, v21, v33, v144
	v_dot4c_i32_i8 v32, v21, v64
	v_cvt_f32_i32_e32 v21, v32
	v_lshlrev_b32_e32 v32, 18, v19
	v_fma_f32 v21, v31, v21, v22
	v_and_b32_e32 v32, 0x100000, v32
	v_add_f32_e32 v20, v21, v20
	v_lshlrev_b32_e32 v21, 4, v19
	v_lshlrev_b32_e32 v19, 25, v19
	v_and_b32_e32 v21, 16, v21
	v_and_b32_e32 v19, 0x10000000, v19
	v_or3_b32 v19, v32, v19, v21
	v_or3_b32 v18, v19, v23, v18
	v_mov_b32_e32 v19, 0
	v_dot4c_i32_i8 v19, v18, v65
	v_cvt_f32_i32_e32 v18, v19
	v_fmac_f32_e32 v22, v31, v18
	v_add_f32_e32 v18, v20, v22
	ds_bpermute_b32 v19, v126, v18
	s_waitcnt lgkmcnt(0)
	v_add_f32_e32 v18, v18, v19
	s_cbranch_vccnz .LBB23_19
; %bb.18:                               ;   in Loop: Header=BB23_15 Depth=1
	global_load_ushort v19, v30, s[10:11] offset:2
	s_waitcnt vmcnt(0)
	v_fma_mix_f32 v18, v67, v19, v18 op_sel_hi:[0,1,0]
.LBB23_19:                              ;   in Loop: Header=BB23_15 Depth=1
	v_add_f32_e32 v19, 0x40051340, v29
	v_add_f32_e32 v20, 0x40051340, v18
	v_cndmask_b32_e64 v18, v18, v29, s1
	v_ashrrev_i32_e32 v145, 31, v75
	v_mul_u32_u24_e32 v147, 34, v81
	s_add_i32 s2, s8, s2
	v_max3_f32 v19, v28, v19, v20
	s_add_u32 s24, s24, s15
	s_addc_u32 s25, s25, 0
	ds_bpermute_b32 v20, v111, v19
	s_waitcnt lgkmcnt(0)
	v_max_f32_e32 v20, v20, v20
	v_max_f32_e32 v19, v19, v20
	ds_bpermute_b32 v20, v112, v19
	s_waitcnt lgkmcnt(0)
	v_max_f32_e32 v20, v20, v20
	v_max_f32_e32 v19, v19, v20
	;; [unrolled: 4-line block ×4, first 2 shown]
	v_sub_f32_e32 v19, v28, v144
	v_sub_f32_e32 v18, v18, v144
	v_mul_f32_e32 v20, 0x3fb8aa3b, v19
	v_cmp_ngt_f32_e32 vcc_lo, 0xc2ce8ed0, v19
	v_fma_f32 v21, 0x3fb8aa3b, v19, -v20
	v_rndne_f32_e32 v22, v20
	v_fmac_f32_e32 v21, 0x32a5705f, v19
	v_sub_f32_e32 v20, v20, v22
	v_add_f32_e32 v20, v20, v21
	v_cvt_i32_f32_e32 v21, v22
	v_exp_f32_e32 v20, v20
	v_ldexp_f32 v20, v20, v21
	v_cndmask_b32_e32 v20, 0, v20, vcc_lo
	v_cmp_nlt_f32_e32 vcc_lo, 0x42b17218, v19
	v_cndmask_b32_e32 v19, 0x7f800000, v20, vcc_lo
	v_mul_f32_e32 v20, 0x3fb8aa3b, v18
	v_cmp_ngt_f32_e32 vcc_lo, 0xc2ce8ed0, v18
	v_fma_f32 v21, 0x3fb8aa3b, v18, -v20
	v_rndne_f32_e32 v22, v20
	v_fmac_f32_e32 v21, 0x32a5705f, v18
	v_sub_f32_e32 v20, v20, v22
	v_add_f32_e32 v20, v20, v21
	v_cvt_i32_f32_e32 v21, v22
	v_exp_f32_e32 v20, v20
	v_ldexp_f32 v20, v20, v21
	v_cndmask_b32_e32 v20, 0, v20, vcc_lo
	v_cmp_nlt_f32_e32 vcc_lo, 0x42b17218, v18
	v_cndmask_b32_e32 v18, 0x7f800000, v20, vcc_lo
	v_add_co_u32 v156, vcc_lo, s3, v75
	v_add_co_ci_u32_e64 v157, null, s19, v145, vcc_lo
	v_mul_hi_u32_u24_e32 v145, 34, v81
	v_add_co_u32 v148, vcc_lo, v156, v147
	v_fma_f32 v77, v77, v19, v18
	v_cvt_f16_f32_e32 v19, v19
	v_add_co_ci_u32_e64 v149, null, v157, v145, vcc_lo
	v_add_co_u32 v150, vcc_lo, v148, v82
	v_cvt_f16_f32_e32 v18, v18
	v_mul_u32_u24_sdwa v19, v19, v83 dst_sel:DWORD dst_unused:UNUSED_PAD src0_sel:WORD_0 src1_sel:DWORD
	v_add_co_ci_u32_e64 v151, null, 0, v149, vcc_lo
	ds_write_b16 v69, v18
	v_pk_mul_f16 v146, v24, v19
	v_pk_mul_f16 v152, v25, v19
	;; [unrolled: 1-line block ×4, first 2 shown]
	ds_read_b128 v[30:33], v79
	ds_read_b128 v[26:29], v79 offset:16
	ds_read_b128 v[22:25], v79 offset:32
	;; [unrolled: 1-line block ×3, first 2 shown]
	s_clause 0x1
	global_load_ushort v148, v[148:149], off
	global_load_dword v149, v[150:151], off offset:2
	s_waitcnt lgkmcnt(3)
	v_mul_u32_u24_sdwa v155, v30, v83 dst_sel:DWORD dst_unused:UNUSED_PAD src0_sel:WORD_0 src1_sel:DWORD
	v_mul_u32_u24_sdwa v30, v30, v83 dst_sel:DWORD dst_unused:UNUSED_PAD src0_sel:WORD_1 src1_sel:DWORD
	s_waitcnt vmcnt(1)
	v_mul_u32_u24_e32 v148, 0x10001, v148
	s_waitcnt vmcnt(0)
	v_pk_lshrrev_b16 v150, 8, v149 op_sel:[1,0] op_sel_hi:[0,0]
	v_pk_lshrrev_b16 v149, 8, v149 op_sel:[1,1] op_sel_hi:[0,1]
	v_lshrrev_b32_e32 v151, 16, v150
	v_cvt_f16_i16_sdwa v150, sext(v150) dst_sel:DWORD dst_unused:UNUSED_PAD src0_sel:BYTE_0
	v_cvt_f16_i16_sdwa v151, sext(v151) dst_sel:DWORD dst_unused:UNUSED_PAD src0_sel:BYTE_0
	v_pack_b32_f16 v150, v150, v151
	v_lshrrev_b32_e32 v151, 16, v149
	v_cvt_f16_i16_sdwa v149, sext(v149) dst_sel:DWORD dst_unused:UNUSED_PAD src0_sel:BYTE_0
	v_pk_mul_f16 v150, v150, v148
	v_cvt_f16_i16_sdwa v151, sext(v151) dst_sel:DWORD dst_unused:UNUSED_PAD src0_sel:BYTE_0
	v_pk_fma_f16 v158, v150, v155, v146
	v_pack_b32_f16 v149, v149, v151
	v_mul_hi_u32_u24_e32 v146, 34, v108
	v_pk_mul_f16 v148, v149, v148
	v_pk_fma_f16 v159, v148, v155, v152
	v_mul_u32_u24_e32 v148, 34, v108
	v_add_co_u32 v149, vcc_lo, v156, v148
	v_add_co_ci_u32_e64 v150, null, v157, v146, vcc_lo
	v_add_co_u32 v151, vcc_lo, v149, v109
	v_add_co_ci_u32_e64 v152, null, 0, v150, vcc_lo
	s_clause 0x1
	global_load_ushort v149, v[149:150], off
	global_load_dword v150, v[151:152], off offset:2
	s_waitcnt vmcnt(1)
	v_mul_u32_u24_e32 v149, 0x10001, v149
	s_waitcnt vmcnt(0)
	v_pk_lshrrev_b16 v151, 8, v150 op_sel:[1,0] op_sel_hi:[0,0]
	v_pk_lshrrev_b16 v150, 8, v150 op_sel:[1,1] op_sel_hi:[0,1]
	v_lshrrev_b32_e32 v152, 16, v151
	v_cvt_f16_i16_sdwa v151, sext(v151) dst_sel:DWORD dst_unused:UNUSED_PAD src0_sel:BYTE_0
	v_cvt_f16_i16_sdwa v152, sext(v152) dst_sel:DWORD dst_unused:UNUSED_PAD src0_sel:BYTE_0
	v_pack_b32_f16 v151, v151, v152
	v_lshrrev_b32_e32 v152, 16, v150
	v_cvt_f16_i16_sdwa v150, sext(v150) dst_sel:DWORD dst_unused:UNUSED_PAD src0_sel:BYTE_0
	v_pk_mul_f16 v151, v151, v149
	v_cvt_f16_i16_sdwa v152, sext(v152) dst_sel:DWORD dst_unused:UNUSED_PAD src0_sel:BYTE_0
	v_pk_fma_f16 v153, v151, v155, v153
	v_pack_b32_f16 v150, v150, v152
	v_pk_mul_f16 v149, v150, v149
	v_pk_fma_f16 v154, v149, v155, v154
	v_ashrrev_i32_e32 v149, 31, v76
	v_add_co_u32 v155, vcc_lo, s3, v76
	v_add_co_ci_u32_e64 v156, null, s19, v149, vcc_lo
	v_add_co_u32 v149, vcc_lo, v155, v147
	v_add_co_ci_u32_e64 v150, null, v156, v145, vcc_lo
	;; [unrolled: 2-line block ×3, first 2 shown]
	s_clause 0x1
	global_load_ushort v149, v[149:150], off
	global_load_dword v150, v[151:152], off offset:2
	s_waitcnt vmcnt(1)
	v_mul_u32_u24_e32 v149, 0x10001, v149
	s_waitcnt vmcnt(0)
	v_pk_lshrrev_b16 v151, 8, v150 op_sel:[1,0] op_sel_hi:[0,0]
	v_pk_lshrrev_b16 v150, 8, v150 op_sel:[1,1] op_sel_hi:[0,1]
	v_lshrrev_b32_e32 v152, 16, v151
	v_cvt_f16_i16_sdwa v151, sext(v151) dst_sel:DWORD dst_unused:UNUSED_PAD src0_sel:BYTE_0
	v_cvt_f16_i16_sdwa v152, sext(v152) dst_sel:DWORD dst_unused:UNUSED_PAD src0_sel:BYTE_0
	v_pack_b32_f16 v151, v151, v152
	v_lshrrev_b32_e32 v152, 16, v150
	v_cvt_f16_i16_sdwa v150, sext(v150) dst_sel:DWORD dst_unused:UNUSED_PAD src0_sel:BYTE_0
	v_pk_mul_f16 v151, v151, v149
	v_cvt_f16_i16_sdwa v152, sext(v152) dst_sel:DWORD dst_unused:UNUSED_PAD src0_sel:BYTE_0
	v_pk_fma_f16 v157, v151, v30, v158
	v_pack_b32_f16 v150, v150, v152
	v_pk_mul_f16 v149, v150, v149
	v_pk_fma_f16 v158, v149, v30, v159
	v_add_co_u32 v149, vcc_lo, v155, v148
	v_add_co_ci_u32_e64 v150, null, v156, v146, vcc_lo
	v_add_co_u32 v151, vcc_lo, v149, v109
	v_add_co_ci_u32_e64 v152, null, 0, v150, vcc_lo
	global_load_ushort v149, v[149:150], off
	v_add_co_u32 v155, vcc_lo, s3, v78
	global_load_dword v150, v[151:152], off offset:2
	s_waitcnt vmcnt(1)
	v_mul_u32_u24_e32 v149, 0x10001, v149
	s_waitcnt vmcnt(0)
	v_pk_lshrrev_b16 v151, 8, v150 op_sel:[1,0] op_sel_hi:[0,0]
	v_pk_lshrrev_b16 v150, 8, v150 op_sel:[1,1] op_sel_hi:[0,1]
	v_lshrrev_b32_e32 v152, 16, v151
	v_cvt_f16_i16_sdwa v151, sext(v151) dst_sel:DWORD dst_unused:UNUSED_PAD src0_sel:BYTE_0
	v_cvt_f16_i16_sdwa v152, sext(v152) dst_sel:DWORD dst_unused:UNUSED_PAD src0_sel:BYTE_0
	v_pack_b32_f16 v151, v151, v152
	v_lshrrev_b32_e32 v152, 16, v150
	v_cvt_f16_i16_sdwa v150, sext(v150) dst_sel:DWORD dst_unused:UNUSED_PAD src0_sel:BYTE_0
	v_pk_mul_f16 v151, v151, v149
	v_cvt_f16_i16_sdwa v152, sext(v152) dst_sel:DWORD dst_unused:UNUSED_PAD src0_sel:BYTE_0
	v_pk_fma_f16 v153, v151, v30, v153
	v_pack_b32_f16 v150, v150, v152
	v_pk_mul_f16 v149, v150, v149
	v_pk_fma_f16 v30, v149, v30, v154
	v_ashrrev_i32_e32 v149, 31, v78
	v_mul_u32_u24_sdwa v154, v31, v83 dst_sel:DWORD dst_unused:UNUSED_PAD src0_sel:WORD_0 src1_sel:DWORD
	v_add_co_ci_u32_e64 v156, null, s19, v149, vcc_lo
	v_add_co_u32 v149, vcc_lo, v155, v147
	v_add_co_ci_u32_e64 v150, null, v156, v145, vcc_lo
	v_add_co_u32 v151, vcc_lo, v149, v82
	v_add_co_ci_u32_e64 v152, null, 0, v150, vcc_lo
	s_clause 0x1
	global_load_ushort v149, v[149:150], off
	global_load_dword v150, v[151:152], off offset:2
	s_waitcnt vmcnt(1)
	v_mul_u32_u24_e32 v149, 0x10001, v149
	s_waitcnt vmcnt(0)
	v_pk_lshrrev_b16 v151, 8, v150 op_sel:[1,0] op_sel_hi:[0,0]
	v_pk_lshrrev_b16 v150, 8, v150 op_sel:[1,1] op_sel_hi:[0,1]
	v_lshrrev_b32_e32 v152, 16, v151
	v_cvt_f16_i16_sdwa v151, sext(v151) dst_sel:DWORD dst_unused:UNUSED_PAD src0_sel:BYTE_0
	v_cvt_f16_i16_sdwa v152, sext(v152) dst_sel:DWORD dst_unused:UNUSED_PAD src0_sel:BYTE_0
	v_pack_b32_f16 v151, v151, v152
	v_lshrrev_b32_e32 v152, 16, v150
	v_cvt_f16_i16_sdwa v150, sext(v150) dst_sel:DWORD dst_unused:UNUSED_PAD src0_sel:BYTE_0
	v_pk_mul_f16 v151, v151, v149
	v_cvt_f16_i16_sdwa v152, sext(v152) dst_sel:DWORD dst_unused:UNUSED_PAD src0_sel:BYTE_0
	v_pk_fma_f16 v157, v151, v154, v157
	v_pack_b32_f16 v150, v150, v152
	v_pk_mul_f16 v149, v150, v149
	v_pk_fma_f16 v158, v149, v154, v158
	v_add_co_u32 v149, vcc_lo, v155, v148
	v_add_co_ci_u32_e64 v150, null, v156, v146, vcc_lo
	v_add_co_u32 v151, vcc_lo, v149, v109
	v_add_co_ci_u32_e64 v152, null, 0, v150, vcc_lo
	s_clause 0x1
	global_load_ushort v149, v[149:150], off
	global_load_dword v150, v[151:152], off offset:2
	s_waitcnt vmcnt(1)
	v_mul_u32_u24_e32 v149, 0x10001, v149
	s_waitcnt vmcnt(0)
	v_pk_lshrrev_b16 v151, 8, v150 op_sel:[1,0] op_sel_hi:[0,0]
	v_pk_lshrrev_b16 v150, 8, v150 op_sel:[1,1] op_sel_hi:[0,1]
	v_lshrrev_b32_e32 v152, 16, v151
	v_cvt_f16_i16_sdwa v151, sext(v151) dst_sel:DWORD dst_unused:UNUSED_PAD src0_sel:BYTE_0
	v_cvt_f16_i16_sdwa v152, sext(v152) dst_sel:DWORD dst_unused:UNUSED_PAD src0_sel:BYTE_0
	v_pack_b32_f16 v151, v151, v152
	v_lshrrev_b32_e32 v152, 16, v150
	v_cvt_f16_i16_sdwa v150, sext(v150) dst_sel:DWORD dst_unused:UNUSED_PAD src0_sel:BYTE_0
	v_pk_mul_f16 v151, v151, v149
	v_cvt_f16_i16_sdwa v152, sext(v152) dst_sel:DWORD dst_unused:UNUSED_PAD src0_sel:BYTE_0
	v_pk_fma_f16 v151, v151, v154, v153
	v_pack_b32_f16 v150, v150, v152
	v_mul_u32_u24_sdwa v153, v31, v83 dst_sel:DWORD dst_unused:UNUSED_PAD src0_sel:WORD_1 src1_sel:DWORD
	v_pk_mul_f16 v149, v150, v149
	v_pk_fma_f16 v152, v149, v154, v30
	v_ashrrev_i32_e32 v30, 31, v80
	v_add_co_u32 v154, vcc_lo, s3, v80
	v_add_co_ci_u32_e64 v155, null, s19, v30, vcc_lo
	v_add_co_u32 v30, vcc_lo, v154, v147
	v_add_co_ci_u32_e64 v31, null, v155, v145, vcc_lo
	;; [unrolled: 2-line block ×3, first 2 shown]
	s_clause 0x1
	global_load_ushort v30, v[30:31], off
	global_load_dword v31, v[149:150], off offset:2
	s_waitcnt vmcnt(1)
	v_mul_u32_u24_e32 v30, 0x10001, v30
	s_waitcnt vmcnt(0)
	v_pk_lshrrev_b16 v149, 8, v31 op_sel:[1,0] op_sel_hi:[0,0]
	v_pk_lshrrev_b16 v31, 8, v31 op_sel:[1,1] op_sel_hi:[0,1]
	v_lshrrev_b32_e32 v150, 16, v149
	v_cvt_f16_i16_sdwa v149, sext(v149) dst_sel:DWORD dst_unused:UNUSED_PAD src0_sel:BYTE_0
	v_cvt_f16_i16_sdwa v150, sext(v150) dst_sel:DWORD dst_unused:UNUSED_PAD src0_sel:BYTE_0
	v_pack_b32_f16 v149, v149, v150
	v_lshrrev_b32_e32 v150, 16, v31
	v_cvt_f16_i16_sdwa v31, sext(v31) dst_sel:DWORD dst_unused:UNUSED_PAD src0_sel:BYTE_0
	v_pk_mul_f16 v149, v149, v30
	v_cvt_f16_i16_sdwa v150, sext(v150) dst_sel:DWORD dst_unused:UNUSED_PAD src0_sel:BYTE_0
	v_pk_fma_f16 v156, v149, v153, v157
	v_pack_b32_f16 v31, v31, v150
	v_pk_mul_f16 v30, v31, v30
	v_pk_fma_f16 v157, v30, v153, v158
	v_add_co_u32 v30, vcc_lo, v154, v148
	v_add_co_ci_u32_e64 v31, null, v155, v146, vcc_lo
	v_add_co_u32 v149, vcc_lo, v30, v109
	v_add_co_ci_u32_e64 v150, null, 0, v31, vcc_lo
	global_load_ushort v30, v[30:31], off
	v_add_co_u32 v154, vcc_lo, s3, v84
	global_load_dword v31, v[149:150], off offset:2
	s_waitcnt vmcnt(1)
	v_mul_u32_u24_e32 v30, 0x10001, v30
	s_waitcnt vmcnt(0)
	v_pk_lshrrev_b16 v149, 8, v31 op_sel:[1,0] op_sel_hi:[0,0]
	v_pk_lshrrev_b16 v31, 8, v31 op_sel:[1,1] op_sel_hi:[0,1]
	v_lshrrev_b32_e32 v150, 16, v149
	v_cvt_f16_i16_sdwa v149, sext(v149) dst_sel:DWORD dst_unused:UNUSED_PAD src0_sel:BYTE_0
	v_cvt_f16_i16_sdwa v150, sext(v150) dst_sel:DWORD dst_unused:UNUSED_PAD src0_sel:BYTE_0
	v_pack_b32_f16 v149, v149, v150
	v_lshrrev_b32_e32 v150, 16, v31
	v_cvt_f16_i16_sdwa v31, sext(v31) dst_sel:DWORD dst_unused:UNUSED_PAD src0_sel:BYTE_0
	v_pk_mul_f16 v149, v149, v30
	v_cvt_f16_i16_sdwa v150, sext(v150) dst_sel:DWORD dst_unused:UNUSED_PAD src0_sel:BYTE_0
	v_pk_fma_f16 v151, v149, v153, v151
	v_pack_b32_f16 v31, v31, v150
	v_pk_mul_f16 v30, v31, v30
	v_pk_fma_f16 v152, v30, v153, v152
	v_ashrrev_i32_e32 v30, 31, v84
	v_mul_u32_u24_sdwa v153, v32, v83 dst_sel:DWORD dst_unused:UNUSED_PAD src0_sel:WORD_0 src1_sel:DWORD
	v_mul_u32_u24_sdwa v32, v32, v83 dst_sel:DWORD dst_unused:UNUSED_PAD src0_sel:WORD_1 src1_sel:DWORD
	v_add_co_ci_u32_e64 v155, null, s19, v30, vcc_lo
	v_add_co_u32 v30, vcc_lo, v154, v147
	v_add_co_ci_u32_e64 v31, null, v155, v145, vcc_lo
	v_add_co_u32 v149, vcc_lo, v30, v82
	v_add_co_ci_u32_e64 v150, null, 0, v31, vcc_lo
	s_clause 0x1
	global_load_ushort v30, v[30:31], off
	global_load_dword v31, v[149:150], off offset:2
	s_waitcnt vmcnt(1)
	v_mul_u32_u24_e32 v30, 0x10001, v30
	s_waitcnt vmcnt(0)
	v_pk_lshrrev_b16 v149, 8, v31 op_sel:[1,0] op_sel_hi:[0,0]
	v_pk_lshrrev_b16 v31, 8, v31 op_sel:[1,1] op_sel_hi:[0,1]
	v_lshrrev_b32_e32 v150, 16, v149
	v_cvt_f16_i16_sdwa v149, sext(v149) dst_sel:DWORD dst_unused:UNUSED_PAD src0_sel:BYTE_0
	v_cvt_f16_i16_sdwa v150, sext(v150) dst_sel:DWORD dst_unused:UNUSED_PAD src0_sel:BYTE_0
	v_pack_b32_f16 v149, v149, v150
	v_lshrrev_b32_e32 v150, 16, v31
	v_cvt_f16_i16_sdwa v31, sext(v31) dst_sel:DWORD dst_unused:UNUSED_PAD src0_sel:BYTE_0
	v_pk_mul_f16 v149, v149, v30
	v_cvt_f16_i16_sdwa v150, sext(v150) dst_sel:DWORD dst_unused:UNUSED_PAD src0_sel:BYTE_0
	v_pk_fma_f16 v156, v149, v153, v156
	v_pack_b32_f16 v31, v31, v150
	v_pk_mul_f16 v30, v31, v30
	v_pk_fma_f16 v157, v30, v153, v157
	v_add_co_u32 v30, vcc_lo, v154, v148
	v_add_co_ci_u32_e64 v31, null, v155, v146, vcc_lo
	v_add_co_u32 v149, vcc_lo, v30, v109
	v_add_co_ci_u32_e64 v150, null, 0, v31, vcc_lo
	s_clause 0x1
	global_load_ushort v30, v[30:31], off
	global_load_dword v31, v[149:150], off offset:2
	s_waitcnt vmcnt(1)
	v_mul_u32_u24_e32 v30, 0x10001, v30
	s_waitcnt vmcnt(0)
	v_pk_lshrrev_b16 v149, 8, v31 op_sel:[1,0] op_sel_hi:[0,0]
	v_pk_lshrrev_b16 v31, 8, v31 op_sel:[1,1] op_sel_hi:[0,1]
	v_lshrrev_b32_e32 v150, 16, v149
	v_cvt_f16_i16_sdwa v149, sext(v149) dst_sel:DWORD dst_unused:UNUSED_PAD src0_sel:BYTE_0
	v_cvt_f16_i16_sdwa v150, sext(v150) dst_sel:DWORD dst_unused:UNUSED_PAD src0_sel:BYTE_0
	v_pack_b32_f16 v149, v149, v150
	v_lshrrev_b32_e32 v150, 16, v31
	v_cvt_f16_i16_sdwa v31, sext(v31) dst_sel:DWORD dst_unused:UNUSED_PAD src0_sel:BYTE_0
	v_pk_mul_f16 v149, v149, v30
	v_cvt_f16_i16_sdwa v150, sext(v150) dst_sel:DWORD dst_unused:UNUSED_PAD src0_sel:BYTE_0
	v_pk_fma_f16 v151, v149, v153, v151
	v_pack_b32_f16 v31, v31, v150
	v_pk_mul_f16 v30, v31, v30
	v_pk_fma_f16 v152, v30, v153, v152
	v_ashrrev_i32_e32 v30, 31, v85
	v_add_co_u32 v153, vcc_lo, s3, v85
	v_add_co_ci_u32_e64 v154, null, s19, v30, vcc_lo
	v_add_co_u32 v30, vcc_lo, v153, v147
	v_add_co_ci_u32_e64 v31, null, v154, v145, vcc_lo
	;; [unrolled: 2-line block ×3, first 2 shown]
	s_clause 0x1
	global_load_ushort v30, v[30:31], off
	global_load_dword v31, v[149:150], off offset:2
	s_waitcnt vmcnt(1)
	v_mul_u32_u24_e32 v30, 0x10001, v30
	s_waitcnt vmcnt(0)
	v_pk_lshrrev_b16 v149, 8, v31 op_sel:[1,0] op_sel_hi:[0,0]
	v_pk_lshrrev_b16 v31, 8, v31 op_sel:[1,1] op_sel_hi:[0,1]
	v_lshrrev_b32_e32 v150, 16, v149
	v_cvt_f16_i16_sdwa v149, sext(v149) dst_sel:DWORD dst_unused:UNUSED_PAD src0_sel:BYTE_0
	v_cvt_f16_i16_sdwa v150, sext(v150) dst_sel:DWORD dst_unused:UNUSED_PAD src0_sel:BYTE_0
	v_pack_b32_f16 v149, v149, v150
	v_lshrrev_b32_e32 v150, 16, v31
	v_cvt_f16_i16_sdwa v31, sext(v31) dst_sel:DWORD dst_unused:UNUSED_PAD src0_sel:BYTE_0
	v_pk_mul_f16 v149, v149, v30
	v_cvt_f16_i16_sdwa v150, sext(v150) dst_sel:DWORD dst_unused:UNUSED_PAD src0_sel:BYTE_0
	v_pk_fma_f16 v155, v149, v32, v156
	v_pack_b32_f16 v31, v31, v150
	v_pk_mul_f16 v30, v31, v30
	v_pk_fma_f16 v156, v30, v32, v157
	v_add_co_u32 v30, vcc_lo, v153, v148
	v_add_co_ci_u32_e64 v31, null, v154, v146, vcc_lo
	v_add_co_u32 v149, vcc_lo, v30, v109
	v_add_co_ci_u32_e64 v150, null, 0, v31, vcc_lo
	global_load_ushort v30, v[30:31], off
	v_add_co_u32 v153, vcc_lo, s3, v89
	global_load_dword v31, v[149:150], off offset:2
	s_waitcnt vmcnt(1)
	v_mul_u32_u24_e32 v30, 0x10001, v30
	s_waitcnt vmcnt(0)
	v_pk_lshrrev_b16 v149, 8, v31 op_sel:[1,0] op_sel_hi:[0,0]
	v_pk_lshrrev_b16 v31, 8, v31 op_sel:[1,1] op_sel_hi:[0,1]
	v_lshrrev_b32_e32 v150, 16, v149
	v_cvt_f16_i16_sdwa v149, sext(v149) dst_sel:DWORD dst_unused:UNUSED_PAD src0_sel:BYTE_0
	v_cvt_f16_i16_sdwa v150, sext(v150) dst_sel:DWORD dst_unused:UNUSED_PAD src0_sel:BYTE_0
	v_pack_b32_f16 v149, v149, v150
	v_lshrrev_b32_e32 v150, 16, v31
	v_cvt_f16_i16_sdwa v31, sext(v31) dst_sel:DWORD dst_unused:UNUSED_PAD src0_sel:BYTE_0
	v_pk_mul_f16 v149, v149, v30
	v_cvt_f16_i16_sdwa v150, sext(v150) dst_sel:DWORD dst_unused:UNUSED_PAD src0_sel:BYTE_0
	v_pk_fma_f16 v151, v149, v32, v151
	v_pack_b32_f16 v31, v31, v150
	v_pk_mul_f16 v30, v31, v30
	v_pk_fma_f16 v32, v30, v32, v152
	v_ashrrev_i32_e32 v30, 31, v89
	v_mul_u32_u24_sdwa v152, v33, v83 dst_sel:DWORD dst_unused:UNUSED_PAD src0_sel:WORD_0 src1_sel:DWORD
	v_add_co_ci_u32_e64 v154, null, s19, v30, vcc_lo
	v_add_co_u32 v30, vcc_lo, v153, v147
	v_add_co_ci_u32_e64 v31, null, v154, v145, vcc_lo
	v_add_co_u32 v149, vcc_lo, v30, v82
	v_add_co_ci_u32_e64 v150, null, 0, v31, vcc_lo
	s_clause 0x1
	global_load_ushort v30, v[30:31], off
	global_load_dword v31, v[149:150], off offset:2
	s_waitcnt vmcnt(1)
	v_mul_u32_u24_e32 v30, 0x10001, v30
	s_waitcnt vmcnt(0)
	v_pk_lshrrev_b16 v149, 8, v31 op_sel:[1,0] op_sel_hi:[0,0]
	v_pk_lshrrev_b16 v31, 8, v31 op_sel:[1,1] op_sel_hi:[0,1]
	v_lshrrev_b32_e32 v150, 16, v149
	v_cvt_f16_i16_sdwa v149, sext(v149) dst_sel:DWORD dst_unused:UNUSED_PAD src0_sel:BYTE_0
	v_cvt_f16_i16_sdwa v150, sext(v150) dst_sel:DWORD dst_unused:UNUSED_PAD src0_sel:BYTE_0
	v_pack_b32_f16 v149, v149, v150
	v_lshrrev_b32_e32 v150, 16, v31
	v_cvt_f16_i16_sdwa v31, sext(v31) dst_sel:DWORD dst_unused:UNUSED_PAD src0_sel:BYTE_0
	v_pk_mul_f16 v149, v149, v30
	v_cvt_f16_i16_sdwa v150, sext(v150) dst_sel:DWORD dst_unused:UNUSED_PAD src0_sel:BYTE_0
	v_pk_fma_f16 v155, v149, v152, v155
	v_pack_b32_f16 v31, v31, v150
	v_pk_mul_f16 v30, v31, v30
	v_pk_fma_f16 v156, v30, v152, v156
	v_add_co_u32 v30, vcc_lo, v153, v148
	v_add_co_ci_u32_e64 v31, null, v154, v146, vcc_lo
	v_add_co_u32 v149, vcc_lo, v30, v109
	v_add_co_ci_u32_e64 v150, null, 0, v31, vcc_lo
	s_clause 0x1
	global_load_ushort v30, v[30:31], off
	global_load_dword v31, v[149:150], off offset:2
	s_waitcnt vmcnt(1)
	v_mul_u32_u24_e32 v30, 0x10001, v30
	s_waitcnt vmcnt(0)
	v_pk_lshrrev_b16 v149, 8, v31 op_sel:[1,0] op_sel_hi:[0,0]
	v_pk_lshrrev_b16 v31, 8, v31 op_sel:[1,1] op_sel_hi:[0,1]
	v_lshrrev_b32_e32 v150, 16, v149
	v_cvt_f16_i16_sdwa v149, sext(v149) dst_sel:DWORD dst_unused:UNUSED_PAD src0_sel:BYTE_0
	v_cvt_f16_i16_sdwa v150, sext(v150) dst_sel:DWORD dst_unused:UNUSED_PAD src0_sel:BYTE_0
	v_pack_b32_f16 v149, v149, v150
	v_lshrrev_b32_e32 v150, 16, v31
	v_cvt_f16_i16_sdwa v31, sext(v31) dst_sel:DWORD dst_unused:UNUSED_PAD src0_sel:BYTE_0
	v_pk_mul_f16 v149, v149, v30
	v_cvt_f16_i16_sdwa v150, sext(v150) dst_sel:DWORD dst_unused:UNUSED_PAD src0_sel:BYTE_0
	v_pk_fma_f16 v149, v149, v152, v151
	v_pack_b32_f16 v31, v31, v150
	v_mul_u32_u24_sdwa v151, v33, v83 dst_sel:DWORD dst_unused:UNUSED_PAD src0_sel:WORD_1 src1_sel:DWORD
	v_pk_mul_f16 v30, v31, v30
	v_pk_fma_f16 v150, v30, v152, v32
	v_ashrrev_i32_e32 v30, 31, v94
	v_add_co_u32 v152, vcc_lo, s3, v94
	v_add_co_ci_u32_e64 v153, null, s19, v30, vcc_lo
	v_add_co_u32 v30, vcc_lo, v152, v147
	v_add_co_ci_u32_e64 v31, null, v153, v145, vcc_lo
	;; [unrolled: 2-line block ×3, first 2 shown]
	s_clause 0x1
	global_load_ushort v30, v[30:31], off
	global_load_dword v31, v[32:33], off offset:2
	s_waitcnt vmcnt(1)
	v_mul_u32_u24_e32 v30, 0x10001, v30
	s_waitcnt vmcnt(0)
	v_pk_lshrrev_b16 v32, 8, v31 op_sel:[1,0] op_sel_hi:[0,0]
	v_pk_lshrrev_b16 v31, 8, v31 op_sel:[1,1] op_sel_hi:[0,1]
	v_lshrrev_b32_e32 v33, 16, v32
	v_cvt_f16_i16_sdwa v32, sext(v32) dst_sel:DWORD dst_unused:UNUSED_PAD src0_sel:BYTE_0
	v_cvt_f16_i16_sdwa v33, sext(v33) dst_sel:DWORD dst_unused:UNUSED_PAD src0_sel:BYTE_0
	v_pack_b32_f16 v32, v32, v33
	v_lshrrev_b32_e32 v33, 16, v31
	v_cvt_f16_i16_sdwa v31, sext(v31) dst_sel:DWORD dst_unused:UNUSED_PAD src0_sel:BYTE_0
	v_pk_mul_f16 v32, v32, v30
	v_cvt_f16_i16_sdwa v33, sext(v33) dst_sel:DWORD dst_unused:UNUSED_PAD src0_sel:BYTE_0
	v_pk_fma_f16 v154, v32, v151, v155
	v_pack_b32_f16 v31, v31, v33
	v_pk_mul_f16 v30, v31, v30
	v_pk_fma_f16 v155, v30, v151, v156
	v_add_co_u32 v30, vcc_lo, v152, v148
	v_add_co_ci_u32_e64 v31, null, v153, v146, vcc_lo
	v_add_co_u32 v32, vcc_lo, v30, v109
	v_add_co_ci_u32_e64 v33, null, 0, v31, vcc_lo
	s_clause 0x1
	global_load_ushort v30, v[30:31], off
	global_load_dword v31, v[32:33], off offset:2
	s_waitcnt vmcnt(1)
	v_mul_u32_u24_e32 v30, 0x10001, v30
	s_waitcnt vmcnt(0)
	v_pk_lshrrev_b16 v32, 8, v31 op_sel:[1,0] op_sel_hi:[0,0]
	v_pk_lshrrev_b16 v31, 8, v31 op_sel:[1,1] op_sel_hi:[0,1]
	v_lshrrev_b32_e32 v33, 16, v32
	v_cvt_f16_i16_sdwa v32, sext(v32) dst_sel:DWORD dst_unused:UNUSED_PAD src0_sel:BYTE_0
	v_cvt_f16_i16_sdwa v33, sext(v33) dst_sel:DWORD dst_unused:UNUSED_PAD src0_sel:BYTE_0
	v_pack_b32_f16 v32, v32, v33
	v_lshrrev_b32_e32 v33, 16, v31
	v_cvt_f16_i16_sdwa v31, sext(v31) dst_sel:DWORD dst_unused:UNUSED_PAD src0_sel:BYTE_0
	v_pk_mul_f16 v32, v32, v30
	v_cvt_f16_i16_sdwa v33, sext(v33) dst_sel:DWORD dst_unused:UNUSED_PAD src0_sel:BYTE_0
	v_pack_b32_f16 v31, v31, v33
	v_add_co_u32 v33, vcc_lo, s3, v99
	v_pk_mul_f16 v31, v31, v30
	v_pk_fma_f16 v30, v32, v151, v149
	v_ashrrev_i32_e32 v149, 31, v99
	s_waitcnt lgkmcnt(2)
	v_mul_u32_u24_sdwa v32, v26, v83 dst_sel:DWORD dst_unused:UNUSED_PAD src0_sel:WORD_0 src1_sel:DWORD
	v_mul_u32_u24_sdwa v26, v26, v83 dst_sel:DWORD dst_unused:UNUSED_PAD src0_sel:WORD_1 src1_sel:DWORD
	v_pk_fma_f16 v31, v31, v151, v150
	v_add_co_ci_u32_e64 v153, null, s19, v149, vcc_lo
	v_add_co_u32 v149, vcc_lo, v33, v147
	v_add_co_ci_u32_e64 v150, null, v153, v145, vcc_lo
	v_add_co_u32 v151, vcc_lo, v149, v82
	v_add_co_ci_u32_e64 v152, null, 0, v150, vcc_lo
	s_clause 0x1
	global_load_ushort v149, v[149:150], off
	global_load_dword v150, v[151:152], off offset:2
	s_waitcnt vmcnt(1)
	v_mul_u32_u24_e32 v149, 0x10001, v149
	s_waitcnt vmcnt(0)
	v_pk_lshrrev_b16 v151, 8, v150 op_sel:[1,0] op_sel_hi:[0,0]
	v_pk_lshrrev_b16 v150, 8, v150 op_sel:[1,1] op_sel_hi:[0,1]
	v_lshrrev_b32_e32 v152, 16, v151
	v_cvt_f16_i16_sdwa v151, sext(v151) dst_sel:DWORD dst_unused:UNUSED_PAD src0_sel:BYTE_0
	v_cvt_f16_i16_sdwa v152, sext(v152) dst_sel:DWORD dst_unused:UNUSED_PAD src0_sel:BYTE_0
	v_pack_b32_f16 v151, v151, v152
	v_lshrrev_b32_e32 v152, 16, v150
	v_cvt_f16_i16_sdwa v150, sext(v150) dst_sel:DWORD dst_unused:UNUSED_PAD src0_sel:BYTE_0
	v_pk_mul_f16 v151, v151, v149
	v_cvt_f16_i16_sdwa v152, sext(v152) dst_sel:DWORD dst_unused:UNUSED_PAD src0_sel:BYTE_0
	v_pk_fma_f16 v154, v151, v32, v154
	v_pack_b32_f16 v150, v150, v152
	v_pk_mul_f16 v149, v150, v149
	v_pk_fma_f16 v155, v149, v32, v155
	v_add_co_u32 v149, vcc_lo, v33, v148
	v_add_co_ci_u32_e64 v150, null, v153, v146, vcc_lo
	v_add_co_u32 v151, vcc_lo, v149, v109
	v_add_co_ci_u32_e64 v152, null, 0, v150, vcc_lo
	s_clause 0x1
	global_load_ushort v33, v[149:150], off
	global_load_dword v149, v[151:152], off offset:2
	s_waitcnt vmcnt(1)
	v_mul_u32_u24_e32 v33, 0x10001, v33
	s_waitcnt vmcnt(0)
	v_pk_lshrrev_b16 v150, 8, v149 op_sel:[1,0] op_sel_hi:[0,0]
	v_pk_lshrrev_b16 v149, 8, v149 op_sel:[1,1] op_sel_hi:[0,1]
	v_lshrrev_b32_e32 v151, 16, v150
	v_cvt_f16_i16_sdwa v150, sext(v150) dst_sel:DWORD dst_unused:UNUSED_PAD src0_sel:BYTE_0
	v_cvt_f16_i16_sdwa v151, sext(v151) dst_sel:DWORD dst_unused:UNUSED_PAD src0_sel:BYTE_0
	v_pack_b32_f16 v150, v150, v151
	v_lshrrev_b32_e32 v151, 16, v149
	v_cvt_f16_i16_sdwa v149, sext(v149) dst_sel:DWORD dst_unused:UNUSED_PAD src0_sel:BYTE_0
	v_pk_mul_f16 v150, v150, v33
	v_cvt_f16_i16_sdwa v151, sext(v151) dst_sel:DWORD dst_unused:UNUSED_PAD src0_sel:BYTE_0
	v_pack_b32_f16 v149, v149, v151
	v_add_co_u32 v151, vcc_lo, s3, v103
	v_pk_mul_f16 v33, v149, v33
	v_pk_fma_f16 v149, v150, v32, v30
	v_ashrrev_i32_e32 v30, 31, v103
	v_pk_fma_f16 v150, v33, v32, v31
	v_add_co_ci_u32_e64 v152, null, s19, v30, vcc_lo
	v_add_co_u32 v30, vcc_lo, v151, v147
	v_add_co_ci_u32_e64 v31, null, v152, v145, vcc_lo
	v_add_co_u32 v32, vcc_lo, v30, v82
	v_add_co_ci_u32_e64 v33, null, 0, v31, vcc_lo
	s_clause 0x1
	global_load_ushort v30, v[30:31], off
	global_load_dword v31, v[32:33], off offset:2
	s_waitcnt vmcnt(1)
	v_mul_u32_u24_e32 v30, 0x10001, v30
	s_waitcnt vmcnt(0)
	v_pk_lshrrev_b16 v32, 8, v31 op_sel:[1,0] op_sel_hi:[0,0]
	v_pk_lshrrev_b16 v31, 8, v31 op_sel:[1,1] op_sel_hi:[0,1]
	v_lshrrev_b32_e32 v33, 16, v32
	v_cvt_f16_i16_sdwa v32, sext(v32) dst_sel:DWORD dst_unused:UNUSED_PAD src0_sel:BYTE_0
	v_cvt_f16_i16_sdwa v33, sext(v33) dst_sel:DWORD dst_unused:UNUSED_PAD src0_sel:BYTE_0
	v_pack_b32_f16 v32, v32, v33
	v_lshrrev_b32_e32 v33, 16, v31
	v_cvt_f16_i16_sdwa v31, sext(v31) dst_sel:DWORD dst_unused:UNUSED_PAD src0_sel:BYTE_0
	v_pk_mul_f16 v32, v32, v30
	v_cvt_f16_i16_sdwa v33, sext(v33) dst_sel:DWORD dst_unused:UNUSED_PAD src0_sel:BYTE_0
	v_pk_fma_f16 v153, v32, v26, v154
	v_pack_b32_f16 v31, v31, v33
	v_pk_mul_f16 v30, v31, v30
	v_pk_fma_f16 v154, v30, v26, v155
	v_add_co_u32 v30, vcc_lo, v151, v148
	v_add_co_ci_u32_e64 v31, null, v152, v146, vcc_lo
	v_add_co_u32 v32, vcc_lo, v30, v109
	v_add_co_ci_u32_e64 v33, null, 0, v31, vcc_lo
	global_load_ushort v30, v[30:31], off
	v_add_co_u32 v151, vcc_lo, s3, v106
	global_load_dword v31, v[32:33], off offset:2
	s_waitcnt vmcnt(1)
	v_mul_u32_u24_e32 v30, 0x10001, v30
	s_waitcnt vmcnt(0)
	v_pk_lshrrev_b16 v32, 8, v31 op_sel:[1,0] op_sel_hi:[0,0]
	v_pk_lshrrev_b16 v31, 8, v31 op_sel:[1,1] op_sel_hi:[0,1]
	v_lshrrev_b32_e32 v33, 16, v32
	v_cvt_f16_i16_sdwa v32, sext(v32) dst_sel:DWORD dst_unused:UNUSED_PAD src0_sel:BYTE_0
	v_cvt_f16_i16_sdwa v33, sext(v33) dst_sel:DWORD dst_unused:UNUSED_PAD src0_sel:BYTE_0
	v_pack_b32_f16 v32, v32, v33
	v_lshrrev_b32_e32 v33, 16, v31
	v_cvt_f16_i16_sdwa v31, sext(v31) dst_sel:DWORD dst_unused:UNUSED_PAD src0_sel:BYTE_0
	v_pk_mul_f16 v32, v32, v30
	v_cvt_f16_i16_sdwa v33, sext(v33) dst_sel:DWORD dst_unused:UNUSED_PAD src0_sel:BYTE_0
	v_pk_fma_f16 v149, v32, v26, v149
	v_pack_b32_f16 v31, v31, v33
	v_pk_mul_f16 v30, v31, v30
	v_pk_fma_f16 v26, v30, v26, v150
	v_ashrrev_i32_e32 v30, 31, v106
	v_mul_u32_u24_sdwa v150, v27, v83 dst_sel:DWORD dst_unused:UNUSED_PAD src0_sel:WORD_0 src1_sel:DWORD
	v_add_co_ci_u32_e64 v152, null, s19, v30, vcc_lo
	v_add_co_u32 v30, vcc_lo, v151, v147
	v_add_co_ci_u32_e64 v31, null, v152, v145, vcc_lo
	v_add_co_u32 v32, vcc_lo, v30, v82
	v_add_co_ci_u32_e64 v33, null, 0, v31, vcc_lo
	s_clause 0x1
	global_load_ushort v30, v[30:31], off
	global_load_dword v31, v[32:33], off offset:2
	s_waitcnt vmcnt(1)
	v_mul_u32_u24_e32 v30, 0x10001, v30
	s_waitcnt vmcnt(0)
	v_pk_lshrrev_b16 v32, 8, v31 op_sel:[1,0] op_sel_hi:[0,0]
	v_pk_lshrrev_b16 v31, 8, v31 op_sel:[1,1] op_sel_hi:[0,1]
	v_lshrrev_b32_e32 v33, 16, v32
	v_cvt_f16_i16_sdwa v32, sext(v32) dst_sel:DWORD dst_unused:UNUSED_PAD src0_sel:BYTE_0
	v_cvt_f16_i16_sdwa v33, sext(v33) dst_sel:DWORD dst_unused:UNUSED_PAD src0_sel:BYTE_0
	v_pack_b32_f16 v32, v32, v33
	v_lshrrev_b32_e32 v33, 16, v31
	v_cvt_f16_i16_sdwa v31, sext(v31) dst_sel:DWORD dst_unused:UNUSED_PAD src0_sel:BYTE_0
	v_pk_mul_f16 v32, v32, v30
	v_cvt_f16_i16_sdwa v33, sext(v33) dst_sel:DWORD dst_unused:UNUSED_PAD src0_sel:BYTE_0
	v_pk_fma_f16 v153, v32, v150, v153
	v_pack_b32_f16 v31, v31, v33
	v_pk_mul_f16 v30, v31, v30
	v_pk_fma_f16 v154, v30, v150, v154
	v_add_co_u32 v30, vcc_lo, v151, v148
	v_add_co_ci_u32_e64 v31, null, v152, v146, vcc_lo
	v_add_co_u32 v32, vcc_lo, v30, v109
	v_add_co_ci_u32_e64 v33, null, 0, v31, vcc_lo
	s_clause 0x1
	global_load_ushort v30, v[30:31], off
	global_load_dword v31, v[32:33], off offset:2
	s_waitcnt vmcnt(1)
	v_mul_u32_u24_e32 v30, 0x10001, v30
	s_waitcnt vmcnt(0)
	v_pk_lshrrev_b16 v32, 8, v31 op_sel:[1,0] op_sel_hi:[0,0]
	v_pk_lshrrev_b16 v31, 8, v31 op_sel:[1,1] op_sel_hi:[0,1]
	v_lshrrev_b32_e32 v33, 16, v32
	v_cvt_f16_i16_sdwa v32, sext(v32) dst_sel:DWORD dst_unused:UNUSED_PAD src0_sel:BYTE_0
	v_cvt_f16_i16_sdwa v33, sext(v33) dst_sel:DWORD dst_unused:UNUSED_PAD src0_sel:BYTE_0
	v_pack_b32_f16 v32, v32, v33
	v_lshrrev_b32_e32 v33, 16, v31
	v_cvt_f16_i16_sdwa v31, sext(v31) dst_sel:DWORD dst_unused:UNUSED_PAD src0_sel:BYTE_0
	v_pk_mul_f16 v32, v32, v30
	v_cvt_f16_i16_sdwa v33, sext(v33) dst_sel:DWORD dst_unused:UNUSED_PAD src0_sel:BYTE_0
	v_pk_fma_f16 v32, v32, v150, v149
	v_pack_b32_f16 v31, v31, v33
	v_mul_u32_u24_sdwa v149, v27, v83 dst_sel:DWORD dst_unused:UNUSED_PAD src0_sel:WORD_1 src1_sel:DWORD
	v_pk_mul_f16 v30, v31, v30
	v_pk_fma_f16 v33, v30, v150, v26
	v_ashrrev_i32_e32 v26, 31, v107
	v_add_co_u32 v150, vcc_lo, s3, v107
	v_add_co_ci_u32_e64 v151, null, s19, v26, vcc_lo
	v_add_co_u32 v26, vcc_lo, v150, v147
	v_add_co_ci_u32_e64 v27, null, v151, v145, vcc_lo
	v_add_co_u32 v30, vcc_lo, v26, v82
	v_add_co_ci_u32_e64 v31, null, 0, v27, vcc_lo
	s_clause 0x1
	global_load_ushort v26, v[26:27], off
	global_load_dword v27, v[30:31], off offset:2
	s_waitcnt vmcnt(1)
	v_mul_u32_u24_e32 v26, 0x10001, v26
	s_waitcnt vmcnt(0)
	v_pk_lshrrev_b16 v30, 8, v27 op_sel:[1,0] op_sel_hi:[0,0]
	v_pk_lshrrev_b16 v27, 8, v27 op_sel:[1,1] op_sel_hi:[0,1]
	v_lshrrev_b32_e32 v31, 16, v30
	v_cvt_f16_i16_sdwa v30, sext(v30) dst_sel:DWORD dst_unused:UNUSED_PAD src0_sel:BYTE_0
	v_cvt_f16_i16_sdwa v31, sext(v31) dst_sel:DWORD dst_unused:UNUSED_PAD src0_sel:BYTE_0
	v_pack_b32_f16 v30, v30, v31
	v_lshrrev_b32_e32 v31, 16, v27
	v_cvt_f16_i16_sdwa v27, sext(v27) dst_sel:DWORD dst_unused:UNUSED_PAD src0_sel:BYTE_0
	v_pk_mul_f16 v30, v30, v26
	v_cvt_f16_i16_sdwa v31, sext(v31) dst_sel:DWORD dst_unused:UNUSED_PAD src0_sel:BYTE_0
	v_pk_fma_f16 v152, v30, v149, v153
	v_pack_b32_f16 v27, v27, v31
	v_pk_mul_f16 v26, v27, v26
	v_pk_fma_f16 v153, v26, v149, v154
	v_add_co_u32 v26, vcc_lo, v150, v148
	v_add_co_ci_u32_e64 v27, null, v151, v146, vcc_lo
	v_add_co_u32 v30, vcc_lo, v26, v109
	v_add_co_ci_u32_e64 v31, null, 0, v27, vcc_lo
	global_load_ushort v26, v[26:27], off
	v_add_co_u32 v150, vcc_lo, s3, v110
	global_load_dword v27, v[30:31], off offset:2
	s_waitcnt vmcnt(1)
	v_mul_u32_u24_e32 v26, 0x10001, v26
	s_waitcnt vmcnt(0)
	v_pk_lshrrev_b16 v30, 8, v27 op_sel:[1,0] op_sel_hi:[0,0]
	v_pk_lshrrev_b16 v27, 8, v27 op_sel:[1,1] op_sel_hi:[0,1]
	v_lshrrev_b32_e32 v31, 16, v30
	v_cvt_f16_i16_sdwa v30, sext(v30) dst_sel:DWORD dst_unused:UNUSED_PAD src0_sel:BYTE_0
	v_cvt_f16_i16_sdwa v31, sext(v31) dst_sel:DWORD dst_unused:UNUSED_PAD src0_sel:BYTE_0
	v_pack_b32_f16 v30, v30, v31
	v_lshrrev_b32_e32 v31, 16, v27
	v_cvt_f16_i16_sdwa v27, sext(v27) dst_sel:DWORD dst_unused:UNUSED_PAD src0_sel:BYTE_0
	v_pk_mul_f16 v30, v30, v26
	v_cvt_f16_i16_sdwa v31, sext(v31) dst_sel:DWORD dst_unused:UNUSED_PAD src0_sel:BYTE_0
	v_pk_fma_f16 v32, v30, v149, v32
	v_pack_b32_f16 v27, v27, v31
	v_pk_mul_f16 v26, v27, v26
	v_pk_fma_f16 v33, v26, v149, v33
	v_ashrrev_i32_e32 v26, 31, v110
	v_mul_u32_u24_sdwa v149, v28, v83 dst_sel:DWORD dst_unused:UNUSED_PAD src0_sel:WORD_0 src1_sel:DWORD
	v_mul_u32_u24_sdwa v28, v28, v83 dst_sel:DWORD dst_unused:UNUSED_PAD src0_sel:WORD_1 src1_sel:DWORD
	v_add_co_ci_u32_e64 v151, null, s19, v26, vcc_lo
	v_add_co_u32 v26, vcc_lo, v150, v147
	v_add_co_ci_u32_e64 v27, null, v151, v145, vcc_lo
	v_add_co_u32 v30, vcc_lo, v26, v82
	v_add_co_ci_u32_e64 v31, null, 0, v27, vcc_lo
	s_clause 0x1
	global_load_ushort v26, v[26:27], off
	global_load_dword v27, v[30:31], off offset:2
	s_waitcnt vmcnt(1)
	v_mul_u32_u24_e32 v26, 0x10001, v26
	s_waitcnt vmcnt(0)
	v_pk_lshrrev_b16 v30, 8, v27 op_sel:[1,0] op_sel_hi:[0,0]
	v_pk_lshrrev_b16 v27, 8, v27 op_sel:[1,1] op_sel_hi:[0,1]
	v_lshrrev_b32_e32 v31, 16, v30
	v_cvt_f16_i16_sdwa v30, sext(v30) dst_sel:DWORD dst_unused:UNUSED_PAD src0_sel:BYTE_0
	v_cvt_f16_i16_sdwa v31, sext(v31) dst_sel:DWORD dst_unused:UNUSED_PAD src0_sel:BYTE_0
	v_pack_b32_f16 v30, v30, v31
	v_lshrrev_b32_e32 v31, 16, v27
	v_cvt_f16_i16_sdwa v27, sext(v27) dst_sel:DWORD dst_unused:UNUSED_PAD src0_sel:BYTE_0
	v_pk_mul_f16 v30, v30, v26
	v_cvt_f16_i16_sdwa v31, sext(v31) dst_sel:DWORD dst_unused:UNUSED_PAD src0_sel:BYTE_0
	v_pk_fma_f16 v152, v30, v149, v152
	v_pack_b32_f16 v27, v27, v31
	v_pk_mul_f16 v26, v27, v26
	v_pk_fma_f16 v153, v26, v149, v153
	v_add_co_u32 v26, vcc_lo, v150, v148
	v_add_co_ci_u32_e64 v27, null, v151, v146, vcc_lo
	v_add_co_u32 v30, vcc_lo, v26, v109
	v_add_co_ci_u32_e64 v31, null, 0, v27, vcc_lo
	s_clause 0x1
	global_load_ushort v26, v[26:27], off
	global_load_dword v27, v[30:31], off offset:2
	s_waitcnt vmcnt(1)
	v_mul_u32_u24_e32 v26, 0x10001, v26
	s_waitcnt vmcnt(0)
	v_pk_lshrrev_b16 v30, 8, v27 op_sel:[1,0] op_sel_hi:[0,0]
	v_pk_lshrrev_b16 v27, 8, v27 op_sel:[1,1] op_sel_hi:[0,1]
	v_lshrrev_b32_e32 v31, 16, v30
	v_cvt_f16_i16_sdwa v30, sext(v30) dst_sel:DWORD dst_unused:UNUSED_PAD src0_sel:BYTE_0
	v_cvt_f16_i16_sdwa v31, sext(v31) dst_sel:DWORD dst_unused:UNUSED_PAD src0_sel:BYTE_0
	v_pack_b32_f16 v30, v30, v31
	v_lshrrev_b32_e32 v31, 16, v27
	v_cvt_f16_i16_sdwa v27, sext(v27) dst_sel:DWORD dst_unused:UNUSED_PAD src0_sel:BYTE_0
	v_pk_mul_f16 v30, v30, v26
	v_cvt_f16_i16_sdwa v31, sext(v31) dst_sel:DWORD dst_unused:UNUSED_PAD src0_sel:BYTE_0
	v_pk_fma_f16 v32, v30, v149, v32
	v_pack_b32_f16 v27, v27, v31
	v_pk_mul_f16 v26, v27, v26
	v_pk_fma_f16 v33, v26, v149, v33
	v_ashrrev_i32_e32 v26, 31, v113
	v_add_co_u32 v149, vcc_lo, s3, v113
	v_add_co_ci_u32_e64 v150, null, s19, v26, vcc_lo
	v_add_co_u32 v26, vcc_lo, v149, v147
	v_add_co_ci_u32_e64 v27, null, v150, v145, vcc_lo
	;; [unrolled: 2-line block ×3, first 2 shown]
	s_clause 0x1
	global_load_ushort v26, v[26:27], off
	global_load_dword v27, v[30:31], off offset:2
	s_waitcnt vmcnt(1)
	v_mul_u32_u24_e32 v26, 0x10001, v26
	s_waitcnt vmcnt(0)
	v_pk_lshrrev_b16 v30, 8, v27 op_sel:[1,0] op_sel_hi:[0,0]
	v_pk_lshrrev_b16 v27, 8, v27 op_sel:[1,1] op_sel_hi:[0,1]
	v_lshrrev_b32_e32 v31, 16, v30
	v_cvt_f16_i16_sdwa v30, sext(v30) dst_sel:DWORD dst_unused:UNUSED_PAD src0_sel:BYTE_0
	v_cvt_f16_i16_sdwa v31, sext(v31) dst_sel:DWORD dst_unused:UNUSED_PAD src0_sel:BYTE_0
	v_pack_b32_f16 v30, v30, v31
	v_lshrrev_b32_e32 v31, 16, v27
	v_cvt_f16_i16_sdwa v27, sext(v27) dst_sel:DWORD dst_unused:UNUSED_PAD src0_sel:BYTE_0
	v_pk_mul_f16 v30, v30, v26
	v_cvt_f16_i16_sdwa v31, sext(v31) dst_sel:DWORD dst_unused:UNUSED_PAD src0_sel:BYTE_0
	v_pk_fma_f16 v151, v30, v28, v152
	v_pack_b32_f16 v27, v27, v31
	v_pk_mul_f16 v26, v27, v26
	v_pk_fma_f16 v152, v26, v28, v153
	v_add_co_u32 v26, vcc_lo, v149, v148
	v_add_co_ci_u32_e64 v27, null, v150, v146, vcc_lo
	v_add_co_u32 v30, vcc_lo, v26, v109
	v_add_co_ci_u32_e64 v31, null, 0, v27, vcc_lo
	global_load_ushort v26, v[26:27], off
	v_add_co_u32 v149, vcc_lo, s3, v114
	global_load_dword v27, v[30:31], off offset:2
	s_waitcnt vmcnt(1)
	v_mul_u32_u24_e32 v26, 0x10001, v26
	s_waitcnt vmcnt(0)
	v_pk_lshrrev_b16 v30, 8, v27 op_sel:[1,0] op_sel_hi:[0,0]
	v_pk_lshrrev_b16 v27, 8, v27 op_sel:[1,1] op_sel_hi:[0,1]
	v_lshrrev_b32_e32 v31, 16, v30
	v_cvt_f16_i16_sdwa v30, sext(v30) dst_sel:DWORD dst_unused:UNUSED_PAD src0_sel:BYTE_0
	v_cvt_f16_i16_sdwa v31, sext(v31) dst_sel:DWORD dst_unused:UNUSED_PAD src0_sel:BYTE_0
	v_pack_b32_f16 v30, v30, v31
	v_lshrrev_b32_e32 v31, 16, v27
	v_cvt_f16_i16_sdwa v27, sext(v27) dst_sel:DWORD dst_unused:UNUSED_PAD src0_sel:BYTE_0
	v_pk_mul_f16 v30, v30, v26
	v_cvt_f16_i16_sdwa v31, sext(v31) dst_sel:DWORD dst_unused:UNUSED_PAD src0_sel:BYTE_0
	v_pk_fma_f16 v32, v30, v28, v32
	v_pack_b32_f16 v27, v27, v31
	v_pk_mul_f16 v26, v27, v26
	v_pk_fma_f16 v28, v26, v28, v33
	v_ashrrev_i32_e32 v26, 31, v114
	v_mul_u32_u24_sdwa v33, v29, v83 dst_sel:DWORD dst_unused:UNUSED_PAD src0_sel:WORD_0 src1_sel:DWORD
	v_add_co_ci_u32_e64 v150, null, s19, v26, vcc_lo
	v_add_co_u32 v26, vcc_lo, v149, v147
	v_add_co_ci_u32_e64 v27, null, v150, v145, vcc_lo
	v_add_co_u32 v30, vcc_lo, v26, v82
	v_add_co_ci_u32_e64 v31, null, 0, v27, vcc_lo
	s_clause 0x1
	global_load_ushort v26, v[26:27], off
	global_load_dword v27, v[30:31], off offset:2
	s_waitcnt vmcnt(1)
	v_mul_u32_u24_e32 v26, 0x10001, v26
	s_waitcnt vmcnt(0)
	v_pk_lshrrev_b16 v30, 8, v27 op_sel:[1,0] op_sel_hi:[0,0]
	v_pk_lshrrev_b16 v27, 8, v27 op_sel:[1,1] op_sel_hi:[0,1]
	v_lshrrev_b32_e32 v31, 16, v30
	v_cvt_f16_i16_sdwa v30, sext(v30) dst_sel:DWORD dst_unused:UNUSED_PAD src0_sel:BYTE_0
	v_cvt_f16_i16_sdwa v31, sext(v31) dst_sel:DWORD dst_unused:UNUSED_PAD src0_sel:BYTE_0
	v_pack_b32_f16 v30, v30, v31
	v_lshrrev_b32_e32 v31, 16, v27
	v_cvt_f16_i16_sdwa v27, sext(v27) dst_sel:DWORD dst_unused:UNUSED_PAD src0_sel:BYTE_0
	v_pk_mul_f16 v30, v30, v26
	v_cvt_f16_i16_sdwa v31, sext(v31) dst_sel:DWORD dst_unused:UNUSED_PAD src0_sel:BYTE_0
	v_pk_fma_f16 v151, v30, v33, v151
	v_pack_b32_f16 v27, v27, v31
	v_pk_mul_f16 v26, v27, v26
	v_pk_fma_f16 v152, v26, v33, v152
	v_add_co_u32 v26, vcc_lo, v149, v148
	v_add_co_ci_u32_e64 v27, null, v150, v146, vcc_lo
	v_add_co_u32 v30, vcc_lo, v26, v109
	v_add_co_ci_u32_e64 v31, null, 0, v27, vcc_lo
	s_clause 0x1
	global_load_ushort v26, v[26:27], off
	global_load_dword v27, v[30:31], off offset:2
	s_waitcnt vmcnt(1)
	v_mul_u32_u24_e32 v26, 0x10001, v26
	s_waitcnt vmcnt(0)
	v_pk_lshrrev_b16 v30, 8, v27 op_sel:[1,0] op_sel_hi:[0,0]
	v_pk_lshrrev_b16 v27, 8, v27 op_sel:[1,1] op_sel_hi:[0,1]
	v_lshrrev_b32_e32 v31, 16, v30
	v_cvt_f16_i16_sdwa v30, sext(v30) dst_sel:DWORD dst_unused:UNUSED_PAD src0_sel:BYTE_0
	v_cvt_f16_i16_sdwa v31, sext(v31) dst_sel:DWORD dst_unused:UNUSED_PAD src0_sel:BYTE_0
	v_pack_b32_f16 v30, v30, v31
	v_lshrrev_b32_e32 v31, 16, v27
	v_cvt_f16_i16_sdwa v27, sext(v27) dst_sel:DWORD dst_unused:UNUSED_PAD src0_sel:BYTE_0
	v_pk_mul_f16 v30, v30, v26
	v_cvt_f16_i16_sdwa v31, sext(v31) dst_sel:DWORD dst_unused:UNUSED_PAD src0_sel:BYTE_0
	v_pk_fma_f16 v30, v30, v33, v32
	v_pack_b32_f16 v27, v27, v31
	v_mul_u32_u24_sdwa v32, v29, v83 dst_sel:DWORD dst_unused:UNUSED_PAD src0_sel:WORD_1 src1_sel:DWORD
	v_pk_mul_f16 v26, v27, v26
	v_pk_fma_f16 v31, v26, v33, v28
	v_ashrrev_i32_e32 v26, 31, v115
	v_add_co_u32 v33, vcc_lo, s3, v115
	v_add_co_ci_u32_e64 v149, null, s19, v26, vcc_lo
	v_add_co_u32 v26, vcc_lo, v33, v147
	v_add_co_ci_u32_e64 v27, null, v149, v145, vcc_lo
	;; [unrolled: 2-line block ×3, first 2 shown]
	s_clause 0x1
	global_load_ushort v26, v[26:27], off
	global_load_dword v27, v[28:29], off offset:2
	s_waitcnt vmcnt(1)
	v_mul_u32_u24_e32 v26, 0x10001, v26
	s_waitcnt vmcnt(0)
	v_pk_lshrrev_b16 v28, 8, v27 op_sel:[1,0] op_sel_hi:[0,0]
	v_pk_lshrrev_b16 v27, 8, v27 op_sel:[1,1] op_sel_hi:[0,1]
	v_lshrrev_b32_e32 v29, 16, v28
	v_cvt_f16_i16_sdwa v28, sext(v28) dst_sel:DWORD dst_unused:UNUSED_PAD src0_sel:BYTE_0
	v_cvt_f16_i16_sdwa v29, sext(v29) dst_sel:DWORD dst_unused:UNUSED_PAD src0_sel:BYTE_0
	v_pack_b32_f16 v28, v28, v29
	v_lshrrev_b32_e32 v29, 16, v27
	v_cvt_f16_i16_sdwa v27, sext(v27) dst_sel:DWORD dst_unused:UNUSED_PAD src0_sel:BYTE_0
	v_pk_mul_f16 v28, v28, v26
	v_cvt_f16_i16_sdwa v29, sext(v29) dst_sel:DWORD dst_unused:UNUSED_PAD src0_sel:BYTE_0
	v_pk_fma_f16 v150, v28, v32, v151
	v_pack_b32_f16 v27, v27, v29
	v_pk_mul_f16 v26, v27, v26
	v_pk_fma_f16 v151, v26, v32, v152
	v_add_co_u32 v26, vcc_lo, v33, v148
	v_add_co_ci_u32_e64 v27, null, v149, v146, vcc_lo
	v_add_co_u32 v28, vcc_lo, v26, v109
	v_add_co_ci_u32_e64 v29, null, 0, v27, vcc_lo
	global_load_ushort v26, v[26:27], off
	v_add_co_u32 v33, vcc_lo, s3, v116
	global_load_dword v27, v[28:29], off offset:2
	s_waitcnt vmcnt(1)
	v_mul_u32_u24_e32 v26, 0x10001, v26
	s_waitcnt vmcnt(0)
	v_pk_lshrrev_b16 v28, 8, v27 op_sel:[1,0] op_sel_hi:[0,0]
	v_pk_lshrrev_b16 v27, 8, v27 op_sel:[1,1] op_sel_hi:[0,1]
	v_lshrrev_b32_e32 v29, 16, v28
	v_cvt_f16_i16_sdwa v28, sext(v28) dst_sel:DWORD dst_unused:UNUSED_PAD src0_sel:BYTE_0
	v_cvt_f16_i16_sdwa v29, sext(v29) dst_sel:DWORD dst_unused:UNUSED_PAD src0_sel:BYTE_0
	v_pack_b32_f16 v28, v28, v29
	v_lshrrev_b32_e32 v29, 16, v27
	v_cvt_f16_i16_sdwa v27, sext(v27) dst_sel:DWORD dst_unused:UNUSED_PAD src0_sel:BYTE_0
	v_pk_mul_f16 v28, v28, v26
	v_cvt_f16_i16_sdwa v29, sext(v29) dst_sel:DWORD dst_unused:UNUSED_PAD src0_sel:BYTE_0
	v_pk_fma_f16 v30, v28, v32, v30
	v_pack_b32_f16 v27, v27, v29
	v_pk_mul_f16 v26, v27, v26
	v_pk_fma_f16 v31, v26, v32, v31
	v_ashrrev_i32_e32 v26, 31, v116
	s_waitcnt lgkmcnt(1)
	v_mul_u32_u24_sdwa v32, v22, v83 dst_sel:DWORD dst_unused:UNUSED_PAD src0_sel:WORD_0 src1_sel:DWORD
	v_mul_u32_u24_sdwa v22, v22, v83 dst_sel:DWORD dst_unused:UNUSED_PAD src0_sel:WORD_1 src1_sel:DWORD
	v_add_co_ci_u32_e64 v149, null, s19, v26, vcc_lo
	v_add_co_u32 v26, vcc_lo, v33, v147
	v_add_co_ci_u32_e64 v27, null, v149, v145, vcc_lo
	v_add_co_u32 v28, vcc_lo, v26, v82
	v_add_co_ci_u32_e64 v29, null, 0, v27, vcc_lo
	s_clause 0x1
	global_load_ushort v26, v[26:27], off
	global_load_dword v27, v[28:29], off offset:2
	s_waitcnt vmcnt(1)
	v_mul_u32_u24_e32 v26, 0x10001, v26
	s_waitcnt vmcnt(0)
	v_pk_lshrrev_b16 v28, 8, v27 op_sel:[1,0] op_sel_hi:[0,0]
	v_pk_lshrrev_b16 v27, 8, v27 op_sel:[1,1] op_sel_hi:[0,1]
	v_lshrrev_b32_e32 v29, 16, v28
	v_cvt_f16_i16_sdwa v28, sext(v28) dst_sel:DWORD dst_unused:UNUSED_PAD src0_sel:BYTE_0
	v_cvt_f16_i16_sdwa v29, sext(v29) dst_sel:DWORD dst_unused:UNUSED_PAD src0_sel:BYTE_0
	v_pack_b32_f16 v28, v28, v29
	v_lshrrev_b32_e32 v29, 16, v27
	v_cvt_f16_i16_sdwa v27, sext(v27) dst_sel:DWORD dst_unused:UNUSED_PAD src0_sel:BYTE_0
	v_pk_mul_f16 v28, v28, v26
	v_cvt_f16_i16_sdwa v29, sext(v29) dst_sel:DWORD dst_unused:UNUSED_PAD src0_sel:BYTE_0
	v_pk_fma_f16 v150, v28, v32, v150
	v_pack_b32_f16 v27, v27, v29
	v_pk_mul_f16 v26, v27, v26
	v_pk_fma_f16 v151, v26, v32, v151
	v_add_co_u32 v26, vcc_lo, v33, v148
	v_add_co_ci_u32_e64 v27, null, v149, v146, vcc_lo
	v_add_co_u32 v28, vcc_lo, v26, v109
	v_add_co_ci_u32_e64 v29, null, 0, v27, vcc_lo
	s_clause 0x1
	global_load_ushort v26, v[26:27], off
	global_load_dword v27, v[28:29], off offset:2
	s_waitcnt vmcnt(1)
	v_mul_u32_u24_e32 v26, 0x10001, v26
	s_waitcnt vmcnt(0)
	v_pk_lshrrev_b16 v28, 8, v27 op_sel:[1,0] op_sel_hi:[0,0]
	v_pk_lshrrev_b16 v27, 8, v27 op_sel:[1,1] op_sel_hi:[0,1]
	v_lshrrev_b32_e32 v29, 16, v28
	v_cvt_f16_i16_sdwa v28, sext(v28) dst_sel:DWORD dst_unused:UNUSED_PAD src0_sel:BYTE_0
	v_cvt_f16_i16_sdwa v29, sext(v29) dst_sel:DWORD dst_unused:UNUSED_PAD src0_sel:BYTE_0
	v_pack_b32_f16 v28, v28, v29
	v_lshrrev_b32_e32 v29, 16, v27
	v_cvt_f16_i16_sdwa v27, sext(v27) dst_sel:DWORD dst_unused:UNUSED_PAD src0_sel:BYTE_0
	v_pk_mul_f16 v28, v28, v26
	v_cvt_f16_i16_sdwa v29, sext(v29) dst_sel:DWORD dst_unused:UNUSED_PAD src0_sel:BYTE_0
	v_pk_fma_f16 v30, v28, v32, v30
	v_pack_b32_f16 v27, v27, v29
	v_pk_mul_f16 v26, v27, v26
	v_pk_fma_f16 v31, v26, v32, v31
	v_ashrrev_i32_e32 v26, 31, v117
	v_add_co_u32 v32, vcc_lo, s3, v117
	v_add_co_ci_u32_e64 v33, null, s19, v26, vcc_lo
	v_add_co_u32 v26, vcc_lo, v32, v147
	v_add_co_ci_u32_e64 v27, null, v33, v145, vcc_lo
	;; [unrolled: 2-line block ×3, first 2 shown]
	s_clause 0x1
	global_load_ushort v26, v[26:27], off
	global_load_dword v27, v[28:29], off offset:2
	s_waitcnt vmcnt(1)
	v_mul_u32_u24_e32 v26, 0x10001, v26
	s_waitcnt vmcnt(0)
	v_pk_lshrrev_b16 v28, 8, v27 op_sel:[1,0] op_sel_hi:[0,0]
	v_pk_lshrrev_b16 v27, 8, v27 op_sel:[1,1] op_sel_hi:[0,1]
	v_lshrrev_b32_e32 v29, 16, v28
	v_cvt_f16_i16_sdwa v28, sext(v28) dst_sel:DWORD dst_unused:UNUSED_PAD src0_sel:BYTE_0
	v_cvt_f16_i16_sdwa v29, sext(v29) dst_sel:DWORD dst_unused:UNUSED_PAD src0_sel:BYTE_0
	v_pack_b32_f16 v28, v28, v29
	v_lshrrev_b32_e32 v29, 16, v27
	v_cvt_f16_i16_sdwa v27, sext(v27) dst_sel:DWORD dst_unused:UNUSED_PAD src0_sel:BYTE_0
	v_pk_mul_f16 v28, v28, v26
	v_cvt_f16_i16_sdwa v29, sext(v29) dst_sel:DWORD dst_unused:UNUSED_PAD src0_sel:BYTE_0
	v_pk_fma_f16 v149, v28, v22, v150
	v_pack_b32_f16 v27, v27, v29
	v_pk_mul_f16 v26, v27, v26
	v_pk_fma_f16 v150, v26, v22, v151
	v_add_co_u32 v26, vcc_lo, v32, v148
	v_add_co_ci_u32_e64 v27, null, v33, v146, vcc_lo
	v_add_co_u32 v28, vcc_lo, v26, v109
	v_add_co_ci_u32_e64 v29, null, 0, v27, vcc_lo
	global_load_ushort v26, v[26:27], off
	v_add_co_u32 v32, vcc_lo, s3, v118
	global_load_dword v27, v[28:29], off offset:2
	s_waitcnt vmcnt(1)
	v_mul_u32_u24_e32 v26, 0x10001, v26
	s_waitcnt vmcnt(0)
	v_pk_lshrrev_b16 v28, 8, v27 op_sel:[1,0] op_sel_hi:[0,0]
	v_pk_lshrrev_b16 v27, 8, v27 op_sel:[1,1] op_sel_hi:[0,1]
	v_lshrrev_b32_e32 v29, 16, v28
	v_cvt_f16_i16_sdwa v28, sext(v28) dst_sel:DWORD dst_unused:UNUSED_PAD src0_sel:BYTE_0
	v_cvt_f16_i16_sdwa v29, sext(v29) dst_sel:DWORD dst_unused:UNUSED_PAD src0_sel:BYTE_0
	v_pack_b32_f16 v28, v28, v29
	v_lshrrev_b32_e32 v29, 16, v27
	v_cvt_f16_i16_sdwa v27, sext(v27) dst_sel:DWORD dst_unused:UNUSED_PAD src0_sel:BYTE_0
	v_pk_mul_f16 v28, v28, v26
	v_cvt_f16_i16_sdwa v29, sext(v29) dst_sel:DWORD dst_unused:UNUSED_PAD src0_sel:BYTE_0
	v_pk_fma_f16 v30, v28, v22, v30
	v_pack_b32_f16 v27, v27, v29
	v_pk_mul_f16 v26, v27, v26
	v_pk_fma_f16 v22, v26, v22, v31
	v_ashrrev_i32_e32 v26, 31, v118
	v_mul_u32_u24_sdwa v31, v23, v83 dst_sel:DWORD dst_unused:UNUSED_PAD src0_sel:WORD_0 src1_sel:DWORD
	v_add_co_ci_u32_e64 v33, null, s19, v26, vcc_lo
	v_add_co_u32 v26, vcc_lo, v32, v147
	v_add_co_ci_u32_e64 v27, null, v33, v145, vcc_lo
	v_add_co_u32 v28, vcc_lo, v26, v82
	v_add_co_ci_u32_e64 v29, null, 0, v27, vcc_lo
	s_clause 0x1
	global_load_ushort v26, v[26:27], off
	global_load_dword v27, v[28:29], off offset:2
	s_waitcnt vmcnt(1)
	v_mul_u32_u24_e32 v26, 0x10001, v26
	s_waitcnt vmcnt(0)
	v_pk_lshrrev_b16 v28, 8, v27 op_sel:[1,0] op_sel_hi:[0,0]
	v_pk_lshrrev_b16 v27, 8, v27 op_sel:[1,1] op_sel_hi:[0,1]
	v_lshrrev_b32_e32 v29, 16, v28
	v_cvt_f16_i16_sdwa v28, sext(v28) dst_sel:DWORD dst_unused:UNUSED_PAD src0_sel:BYTE_0
	v_cvt_f16_i16_sdwa v29, sext(v29) dst_sel:DWORD dst_unused:UNUSED_PAD src0_sel:BYTE_0
	v_pack_b32_f16 v28, v28, v29
	v_lshrrev_b32_e32 v29, 16, v27
	v_cvt_f16_i16_sdwa v27, sext(v27) dst_sel:DWORD dst_unused:UNUSED_PAD src0_sel:BYTE_0
	v_pk_mul_f16 v28, v28, v26
	v_cvt_f16_i16_sdwa v29, sext(v29) dst_sel:DWORD dst_unused:UNUSED_PAD src0_sel:BYTE_0
	v_pk_fma_f16 v149, v28, v31, v149
	v_pack_b32_f16 v27, v27, v29
	v_pk_mul_f16 v26, v27, v26
	v_pk_fma_f16 v150, v26, v31, v150
	v_add_co_u32 v26, vcc_lo, v32, v148
	v_add_co_ci_u32_e64 v27, null, v33, v146, vcc_lo
	v_add_co_u32 v28, vcc_lo, v26, v109
	v_add_co_ci_u32_e64 v29, null, 0, v27, vcc_lo
	s_clause 0x1
	global_load_ushort v26, v[26:27], off
	global_load_dword v27, v[28:29], off offset:2
	s_waitcnt vmcnt(1)
	v_mul_u32_u24_e32 v26, 0x10001, v26
	s_waitcnt vmcnt(0)
	v_pk_lshrrev_b16 v28, 8, v27 op_sel:[1,0] op_sel_hi:[0,0]
	v_pk_lshrrev_b16 v27, 8, v27 op_sel:[1,1] op_sel_hi:[0,1]
	v_lshrrev_b32_e32 v29, 16, v28
	v_cvt_f16_i16_sdwa v28, sext(v28) dst_sel:DWORD dst_unused:UNUSED_PAD src0_sel:BYTE_0
	v_cvt_f16_i16_sdwa v29, sext(v29) dst_sel:DWORD dst_unused:UNUSED_PAD src0_sel:BYTE_0
	v_pack_b32_f16 v28, v28, v29
	v_lshrrev_b32_e32 v29, 16, v27
	v_cvt_f16_i16_sdwa v27, sext(v27) dst_sel:DWORD dst_unused:UNUSED_PAD src0_sel:BYTE_0
	v_pk_mul_f16 v28, v28, v26
	v_cvt_f16_i16_sdwa v29, sext(v29) dst_sel:DWORD dst_unused:UNUSED_PAD src0_sel:BYTE_0
	v_pk_fma_f16 v28, v28, v31, v30
	v_pack_b32_f16 v27, v27, v29
	v_mul_u32_u24_sdwa v30, v23, v83 dst_sel:DWORD dst_unused:UNUSED_PAD src0_sel:WORD_1 src1_sel:DWORD
	v_pk_mul_f16 v26, v27, v26
	v_pk_fma_f16 v29, v26, v31, v22
	v_ashrrev_i32_e32 v22, 31, v119
	v_add_co_u32 v31, vcc_lo, s3, v119
	v_add_co_ci_u32_e64 v32, null, s19, v22, vcc_lo
	v_add_co_u32 v22, vcc_lo, v31, v147
	v_add_co_ci_u32_e64 v23, null, v32, v145, vcc_lo
	;; [unrolled: 2-line block ×3, first 2 shown]
	s_clause 0x1
	global_load_ushort v22, v[22:23], off
	global_load_dword v23, v[26:27], off offset:2
	s_waitcnt vmcnt(1)
	v_mul_u32_u24_e32 v22, 0x10001, v22
	s_waitcnt vmcnt(0)
	v_pk_lshrrev_b16 v26, 8, v23 op_sel:[1,0] op_sel_hi:[0,0]
	v_pk_lshrrev_b16 v23, 8, v23 op_sel:[1,1] op_sel_hi:[0,1]
	v_lshrrev_b32_e32 v27, 16, v26
	v_cvt_f16_i16_sdwa v26, sext(v26) dst_sel:DWORD dst_unused:UNUSED_PAD src0_sel:BYTE_0
	v_cvt_f16_i16_sdwa v27, sext(v27) dst_sel:DWORD dst_unused:UNUSED_PAD src0_sel:BYTE_0
	v_pack_b32_f16 v26, v26, v27
	v_lshrrev_b32_e32 v27, 16, v23
	v_cvt_f16_i16_sdwa v23, sext(v23) dst_sel:DWORD dst_unused:UNUSED_PAD src0_sel:BYTE_0
	v_pk_mul_f16 v26, v26, v22
	v_cvt_f16_i16_sdwa v27, sext(v27) dst_sel:DWORD dst_unused:UNUSED_PAD src0_sel:BYTE_0
	v_pk_fma_f16 v33, v26, v30, v149
	v_pack_b32_f16 v23, v23, v27
	v_pk_mul_f16 v22, v23, v22
	v_pk_fma_f16 v149, v22, v30, v150
	v_add_co_u32 v22, vcc_lo, v31, v148
	v_add_co_ci_u32_e64 v23, null, v32, v146, vcc_lo
	v_add_co_u32 v26, vcc_lo, v22, v109
	v_add_co_ci_u32_e64 v27, null, 0, v23, vcc_lo
	global_load_ushort v22, v[22:23], off
	v_add_co_u32 v31, vcc_lo, s3, v120
	global_load_dword v23, v[26:27], off offset:2
	s_waitcnt vmcnt(1)
	v_mul_u32_u24_e32 v22, 0x10001, v22
	s_waitcnt vmcnt(0)
	v_pk_lshrrev_b16 v26, 8, v23 op_sel:[1,0] op_sel_hi:[0,0]
	v_pk_lshrrev_b16 v23, 8, v23 op_sel:[1,1] op_sel_hi:[0,1]
	v_lshrrev_b32_e32 v27, 16, v26
	v_cvt_f16_i16_sdwa v26, sext(v26) dst_sel:DWORD dst_unused:UNUSED_PAD src0_sel:BYTE_0
	v_cvt_f16_i16_sdwa v27, sext(v27) dst_sel:DWORD dst_unused:UNUSED_PAD src0_sel:BYTE_0
	v_pack_b32_f16 v26, v26, v27
	v_lshrrev_b32_e32 v27, 16, v23
	v_cvt_f16_i16_sdwa v23, sext(v23) dst_sel:DWORD dst_unused:UNUSED_PAD src0_sel:BYTE_0
	v_pk_mul_f16 v26, v26, v22
	v_cvt_f16_i16_sdwa v27, sext(v27) dst_sel:DWORD dst_unused:UNUSED_PAD src0_sel:BYTE_0
	v_pk_fma_f16 v28, v26, v30, v28
	v_pack_b32_f16 v23, v23, v27
	v_pk_mul_f16 v22, v23, v22
	v_pk_fma_f16 v29, v22, v30, v29
	v_ashrrev_i32_e32 v22, 31, v120
	v_mul_u32_u24_sdwa v30, v24, v83 dst_sel:DWORD dst_unused:UNUSED_PAD src0_sel:WORD_0 src1_sel:DWORD
	v_mul_u32_u24_sdwa v24, v24, v83 dst_sel:DWORD dst_unused:UNUSED_PAD src0_sel:WORD_1 src1_sel:DWORD
	v_add_co_ci_u32_e64 v32, null, s19, v22, vcc_lo
	v_add_co_u32 v22, vcc_lo, v31, v147
	v_add_co_ci_u32_e64 v23, null, v32, v145, vcc_lo
	v_add_co_u32 v26, vcc_lo, v22, v82
	v_add_co_ci_u32_e64 v27, null, 0, v23, vcc_lo
	s_clause 0x1
	global_load_ushort v22, v[22:23], off
	global_load_dword v23, v[26:27], off offset:2
	s_waitcnt vmcnt(1)
	v_mul_u32_u24_e32 v22, 0x10001, v22
	s_waitcnt vmcnt(0)
	v_pk_lshrrev_b16 v26, 8, v23 op_sel:[1,0] op_sel_hi:[0,0]
	v_pk_lshrrev_b16 v23, 8, v23 op_sel:[1,1] op_sel_hi:[0,1]
	v_lshrrev_b32_e32 v27, 16, v26
	v_cvt_f16_i16_sdwa v26, sext(v26) dst_sel:DWORD dst_unused:UNUSED_PAD src0_sel:BYTE_0
	v_cvt_f16_i16_sdwa v27, sext(v27) dst_sel:DWORD dst_unused:UNUSED_PAD src0_sel:BYTE_0
	v_pack_b32_f16 v26, v26, v27
	v_lshrrev_b32_e32 v27, 16, v23
	v_cvt_f16_i16_sdwa v23, sext(v23) dst_sel:DWORD dst_unused:UNUSED_PAD src0_sel:BYTE_0
	v_pk_mul_f16 v26, v26, v22
	v_cvt_f16_i16_sdwa v27, sext(v27) dst_sel:DWORD dst_unused:UNUSED_PAD src0_sel:BYTE_0
	v_pk_fma_f16 v33, v26, v30, v33
	v_pack_b32_f16 v23, v23, v27
	v_pk_mul_f16 v22, v23, v22
	v_pk_fma_f16 v149, v22, v30, v149
	v_add_co_u32 v22, vcc_lo, v31, v148
	v_add_co_ci_u32_e64 v23, null, v32, v146, vcc_lo
	v_add_co_u32 v26, vcc_lo, v22, v109
	v_add_co_ci_u32_e64 v27, null, 0, v23, vcc_lo
	s_clause 0x1
	global_load_ushort v22, v[22:23], off
	global_load_dword v23, v[26:27], off offset:2
	s_waitcnt vmcnt(1)
	v_mul_u32_u24_e32 v22, 0x10001, v22
	s_waitcnt vmcnt(0)
	v_pk_lshrrev_b16 v26, 8, v23 op_sel:[1,0] op_sel_hi:[0,0]
	v_pk_lshrrev_b16 v23, 8, v23 op_sel:[1,1] op_sel_hi:[0,1]
	v_lshrrev_b32_e32 v27, 16, v26
	v_cvt_f16_i16_sdwa v26, sext(v26) dst_sel:DWORD dst_unused:UNUSED_PAD src0_sel:BYTE_0
	v_cvt_f16_i16_sdwa v27, sext(v27) dst_sel:DWORD dst_unused:UNUSED_PAD src0_sel:BYTE_0
	v_pack_b32_f16 v26, v26, v27
	v_lshrrev_b32_e32 v27, 16, v23
	v_cvt_f16_i16_sdwa v23, sext(v23) dst_sel:DWORD dst_unused:UNUSED_PAD src0_sel:BYTE_0
	v_pk_mul_f16 v26, v26, v22
	v_cvt_f16_i16_sdwa v27, sext(v27) dst_sel:DWORD dst_unused:UNUSED_PAD src0_sel:BYTE_0
	v_pk_fma_f16 v28, v26, v30, v28
	v_pack_b32_f16 v23, v23, v27
	v_pk_mul_f16 v22, v23, v22
	v_pk_fma_f16 v29, v22, v30, v29
	v_ashrrev_i32_e32 v22, 31, v121
	v_add_co_u32 v30, vcc_lo, s3, v121
	v_add_co_ci_u32_e64 v31, null, s19, v22, vcc_lo
	v_add_co_u32 v22, vcc_lo, v30, v147
	v_add_co_ci_u32_e64 v23, null, v31, v145, vcc_lo
	;; [unrolled: 2-line block ×3, first 2 shown]
	s_clause 0x1
	global_load_ushort v22, v[22:23], off
	global_load_dword v23, v[26:27], off offset:2
	s_waitcnt vmcnt(1)
	v_mul_u32_u24_e32 v22, 0x10001, v22
	s_waitcnt vmcnt(0)
	v_pk_lshrrev_b16 v26, 8, v23 op_sel:[1,0] op_sel_hi:[0,0]
	v_pk_lshrrev_b16 v23, 8, v23 op_sel:[1,1] op_sel_hi:[0,1]
	v_lshrrev_b32_e32 v27, 16, v26
	v_cvt_f16_i16_sdwa v26, sext(v26) dst_sel:DWORD dst_unused:UNUSED_PAD src0_sel:BYTE_0
	v_cvt_f16_i16_sdwa v27, sext(v27) dst_sel:DWORD dst_unused:UNUSED_PAD src0_sel:BYTE_0
	v_pack_b32_f16 v26, v26, v27
	v_lshrrev_b32_e32 v27, 16, v23
	v_cvt_f16_i16_sdwa v23, sext(v23) dst_sel:DWORD dst_unused:UNUSED_PAD src0_sel:BYTE_0
	v_pk_mul_f16 v26, v26, v22
	v_cvt_f16_i16_sdwa v27, sext(v27) dst_sel:DWORD dst_unused:UNUSED_PAD src0_sel:BYTE_0
	v_pk_fma_f16 v32, v26, v24, v33
	v_pack_b32_f16 v23, v23, v27
	v_pk_mul_f16 v22, v23, v22
	v_pk_fma_f16 v33, v22, v24, v149
	v_add_co_u32 v22, vcc_lo, v30, v148
	v_add_co_ci_u32_e64 v23, null, v31, v146, vcc_lo
	v_add_co_u32 v26, vcc_lo, v22, v109
	v_add_co_ci_u32_e64 v27, null, 0, v23, vcc_lo
	global_load_ushort v22, v[22:23], off
	v_add_co_u32 v30, vcc_lo, s3, v123
	global_load_dword v23, v[26:27], off offset:2
	s_waitcnt vmcnt(1)
	v_mul_u32_u24_e32 v22, 0x10001, v22
	s_waitcnt vmcnt(0)
	v_pk_lshrrev_b16 v26, 8, v23 op_sel:[1,0] op_sel_hi:[0,0]
	v_pk_lshrrev_b16 v23, 8, v23 op_sel:[1,1] op_sel_hi:[0,1]
	v_lshrrev_b32_e32 v27, 16, v26
	v_cvt_f16_i16_sdwa v26, sext(v26) dst_sel:DWORD dst_unused:UNUSED_PAD src0_sel:BYTE_0
	v_cvt_f16_i16_sdwa v27, sext(v27) dst_sel:DWORD dst_unused:UNUSED_PAD src0_sel:BYTE_0
	v_pack_b32_f16 v26, v26, v27
	v_lshrrev_b32_e32 v27, 16, v23
	v_cvt_f16_i16_sdwa v23, sext(v23) dst_sel:DWORD dst_unused:UNUSED_PAD src0_sel:BYTE_0
	v_pk_mul_f16 v26, v26, v22
	v_cvt_f16_i16_sdwa v27, sext(v27) dst_sel:DWORD dst_unused:UNUSED_PAD src0_sel:BYTE_0
	v_pk_fma_f16 v28, v26, v24, v28
	v_pack_b32_f16 v23, v23, v27
	v_pk_mul_f16 v22, v23, v22
	v_pk_fma_f16 v24, v22, v24, v29
	v_ashrrev_i32_e32 v22, 31, v123
	v_mul_u32_u24_sdwa v29, v25, v83 dst_sel:DWORD dst_unused:UNUSED_PAD src0_sel:WORD_0 src1_sel:DWORD
	v_add_co_ci_u32_e64 v31, null, s19, v22, vcc_lo
	v_add_co_u32 v22, vcc_lo, v30, v147
	v_add_co_ci_u32_e64 v23, null, v31, v145, vcc_lo
	v_add_co_u32 v26, vcc_lo, v22, v82
	v_add_co_ci_u32_e64 v27, null, 0, v23, vcc_lo
	s_clause 0x1
	global_load_ushort v22, v[22:23], off
	global_load_dword v23, v[26:27], off offset:2
	s_waitcnt vmcnt(1)
	v_mul_u32_u24_e32 v22, 0x10001, v22
	s_waitcnt vmcnt(0)
	v_pk_lshrrev_b16 v26, 8, v23 op_sel:[1,0] op_sel_hi:[0,0]
	v_pk_lshrrev_b16 v23, 8, v23 op_sel:[1,1] op_sel_hi:[0,1]
	v_lshrrev_b32_e32 v27, 16, v26
	v_cvt_f16_i16_sdwa v26, sext(v26) dst_sel:DWORD dst_unused:UNUSED_PAD src0_sel:BYTE_0
	v_cvt_f16_i16_sdwa v27, sext(v27) dst_sel:DWORD dst_unused:UNUSED_PAD src0_sel:BYTE_0
	v_pack_b32_f16 v26, v26, v27
	v_lshrrev_b32_e32 v27, 16, v23
	v_cvt_f16_i16_sdwa v23, sext(v23) dst_sel:DWORD dst_unused:UNUSED_PAD src0_sel:BYTE_0
	v_pk_mul_f16 v26, v26, v22
	v_cvt_f16_i16_sdwa v27, sext(v27) dst_sel:DWORD dst_unused:UNUSED_PAD src0_sel:BYTE_0
	v_pk_fma_f16 v32, v26, v29, v32
	v_pack_b32_f16 v23, v23, v27
	v_pk_mul_f16 v22, v23, v22
	v_pk_fma_f16 v33, v22, v29, v33
	v_add_co_u32 v22, vcc_lo, v30, v148
	v_add_co_ci_u32_e64 v23, null, v31, v146, vcc_lo
	v_add_co_u32 v26, vcc_lo, v22, v109
	v_add_co_ci_u32_e64 v27, null, 0, v23, vcc_lo
	s_clause 0x1
	global_load_ushort v22, v[22:23], off
	global_load_dword v23, v[26:27], off offset:2
	s_waitcnt vmcnt(1)
	v_mul_u32_u24_e32 v22, 0x10001, v22
	s_waitcnt vmcnt(0)
	v_pk_lshrrev_b16 v26, 8, v23 op_sel:[1,0] op_sel_hi:[0,0]
	v_pk_lshrrev_b16 v23, 8, v23 op_sel:[1,1] op_sel_hi:[0,1]
	v_lshrrev_b32_e32 v27, 16, v26
	v_cvt_f16_i16_sdwa v26, sext(v26) dst_sel:DWORD dst_unused:UNUSED_PAD src0_sel:BYTE_0
	v_cvt_f16_i16_sdwa v27, sext(v27) dst_sel:DWORD dst_unused:UNUSED_PAD src0_sel:BYTE_0
	v_pack_b32_f16 v26, v26, v27
	v_lshrrev_b32_e32 v27, 16, v23
	v_cvt_f16_i16_sdwa v23, sext(v23) dst_sel:DWORD dst_unused:UNUSED_PAD src0_sel:BYTE_0
	v_pk_mul_f16 v26, v26, v22
	v_cvt_f16_i16_sdwa v27, sext(v27) dst_sel:DWORD dst_unused:UNUSED_PAD src0_sel:BYTE_0
	v_pk_fma_f16 v26, v26, v29, v28
	v_pack_b32_f16 v23, v23, v27
	v_mul_u32_u24_sdwa v28, v25, v83 dst_sel:DWORD dst_unused:UNUSED_PAD src0_sel:WORD_1 src1_sel:DWORD
	v_pk_mul_f16 v22, v23, v22
	v_pk_fma_f16 v27, v22, v29, v24
	v_ashrrev_i32_e32 v22, 31, v125
	v_add_co_u32 v29, vcc_lo, s3, v125
	v_add_co_ci_u32_e64 v30, null, s19, v22, vcc_lo
	v_add_co_u32 v22, vcc_lo, v29, v147
	v_add_co_ci_u32_e64 v23, null, v30, v145, vcc_lo
	;; [unrolled: 2-line block ×3, first 2 shown]
	s_clause 0x1
	global_load_ushort v22, v[22:23], off
	global_load_dword v23, v[24:25], off offset:2
	s_waitcnt vmcnt(1)
	v_mul_u32_u24_e32 v22, 0x10001, v22
	s_waitcnt vmcnt(0)
	v_pk_lshrrev_b16 v24, 8, v23 op_sel:[1,0] op_sel_hi:[0,0]
	v_pk_lshrrev_b16 v23, 8, v23 op_sel:[1,1] op_sel_hi:[0,1]
	v_lshrrev_b32_e32 v25, 16, v24
	v_cvt_f16_i16_sdwa v24, sext(v24) dst_sel:DWORD dst_unused:UNUSED_PAD src0_sel:BYTE_0
	v_cvt_f16_i16_sdwa v25, sext(v25) dst_sel:DWORD dst_unused:UNUSED_PAD src0_sel:BYTE_0
	v_pack_b32_f16 v24, v24, v25
	v_lshrrev_b32_e32 v25, 16, v23
	v_cvt_f16_i16_sdwa v23, sext(v23) dst_sel:DWORD dst_unused:UNUSED_PAD src0_sel:BYTE_0
	v_pk_mul_f16 v24, v24, v22
	v_cvt_f16_i16_sdwa v25, sext(v25) dst_sel:DWORD dst_unused:UNUSED_PAD src0_sel:BYTE_0
	v_pk_fma_f16 v31, v24, v28, v32
	v_pack_b32_f16 v23, v23, v25
	v_pk_mul_f16 v22, v23, v22
	v_pk_fma_f16 v32, v22, v28, v33
	v_add_co_u32 v22, vcc_lo, v29, v148
	v_add_co_ci_u32_e64 v23, null, v30, v146, vcc_lo
	v_add_co_u32 v24, vcc_lo, v22, v109
	v_add_co_ci_u32_e64 v25, null, 0, v23, vcc_lo
	global_load_ushort v22, v[22:23], off
	v_add_co_u32 v29, vcc_lo, s3, v127
	global_load_dword v23, v[24:25], off offset:2
	s_waitcnt vmcnt(1)
	v_mul_u32_u24_e32 v22, 0x10001, v22
	s_waitcnt vmcnt(0)
	v_pk_lshrrev_b16 v24, 8, v23 op_sel:[1,0] op_sel_hi:[0,0]
	v_pk_lshrrev_b16 v23, 8, v23 op_sel:[1,1] op_sel_hi:[0,1]
	v_lshrrev_b32_e32 v25, 16, v24
	v_cvt_f16_i16_sdwa v24, sext(v24) dst_sel:DWORD dst_unused:UNUSED_PAD src0_sel:BYTE_0
	v_cvt_f16_i16_sdwa v25, sext(v25) dst_sel:DWORD dst_unused:UNUSED_PAD src0_sel:BYTE_0
	v_pack_b32_f16 v24, v24, v25
	v_lshrrev_b32_e32 v25, 16, v23
	v_cvt_f16_i16_sdwa v23, sext(v23) dst_sel:DWORD dst_unused:UNUSED_PAD src0_sel:BYTE_0
	v_pk_mul_f16 v24, v24, v22
	v_cvt_f16_i16_sdwa v25, sext(v25) dst_sel:DWORD dst_unused:UNUSED_PAD src0_sel:BYTE_0
	v_pk_fma_f16 v26, v24, v28, v26
	v_pack_b32_f16 v23, v23, v25
	v_pk_mul_f16 v22, v23, v22
	v_pk_fma_f16 v27, v22, v28, v27
	v_ashrrev_i32_e32 v22, 31, v127
	s_waitcnt lgkmcnt(0)
	v_mul_u32_u24_sdwa v28, v18, v83 dst_sel:DWORD dst_unused:UNUSED_PAD src0_sel:WORD_0 src1_sel:DWORD
	v_mul_u32_u24_sdwa v18, v18, v83 dst_sel:DWORD dst_unused:UNUSED_PAD src0_sel:WORD_1 src1_sel:DWORD
	v_add_co_ci_u32_e64 v30, null, s19, v22, vcc_lo
	v_add_co_u32 v22, vcc_lo, v29, v147
	v_add_co_ci_u32_e64 v23, null, v30, v145, vcc_lo
	v_add_co_u32 v24, vcc_lo, v22, v82
	v_add_co_ci_u32_e64 v25, null, 0, v23, vcc_lo
	s_clause 0x1
	global_load_ushort v22, v[22:23], off
	global_load_dword v23, v[24:25], off offset:2
	s_waitcnt vmcnt(1)
	v_mul_u32_u24_e32 v22, 0x10001, v22
	s_waitcnt vmcnt(0)
	v_pk_lshrrev_b16 v24, 8, v23 op_sel:[1,0] op_sel_hi:[0,0]
	v_pk_lshrrev_b16 v23, 8, v23 op_sel:[1,1] op_sel_hi:[0,1]
	v_lshrrev_b32_e32 v25, 16, v24
	v_cvt_f16_i16_sdwa v24, sext(v24) dst_sel:DWORD dst_unused:UNUSED_PAD src0_sel:BYTE_0
	v_cvt_f16_i16_sdwa v25, sext(v25) dst_sel:DWORD dst_unused:UNUSED_PAD src0_sel:BYTE_0
	v_pack_b32_f16 v24, v24, v25
	v_lshrrev_b32_e32 v25, 16, v23
	v_cvt_f16_i16_sdwa v23, sext(v23) dst_sel:DWORD dst_unused:UNUSED_PAD src0_sel:BYTE_0
	v_pk_mul_f16 v24, v24, v22
	v_cvt_f16_i16_sdwa v25, sext(v25) dst_sel:DWORD dst_unused:UNUSED_PAD src0_sel:BYTE_0
	v_pk_fma_f16 v31, v24, v28, v31
	v_pack_b32_f16 v23, v23, v25
	v_pk_mul_f16 v22, v23, v22
	v_pk_fma_f16 v32, v22, v28, v32
	v_add_co_u32 v22, vcc_lo, v29, v148
	v_add_co_ci_u32_e64 v23, null, v30, v146, vcc_lo
	v_add_co_u32 v24, vcc_lo, v22, v109
	v_add_co_ci_u32_e64 v25, null, 0, v23, vcc_lo
	s_clause 0x1
	global_load_ushort v22, v[22:23], off
	global_load_dword v23, v[24:25], off offset:2
	s_waitcnt vmcnt(1)
	v_mul_u32_u24_e32 v22, 0x10001, v22
	s_waitcnt vmcnt(0)
	v_pk_lshrrev_b16 v24, 8, v23 op_sel:[1,0] op_sel_hi:[0,0]
	v_pk_lshrrev_b16 v23, 8, v23 op_sel:[1,1] op_sel_hi:[0,1]
	v_lshrrev_b32_e32 v25, 16, v24
	v_cvt_f16_i16_sdwa v24, sext(v24) dst_sel:DWORD dst_unused:UNUSED_PAD src0_sel:BYTE_0
	v_cvt_f16_i16_sdwa v25, sext(v25) dst_sel:DWORD dst_unused:UNUSED_PAD src0_sel:BYTE_0
	v_pack_b32_f16 v24, v24, v25
	v_lshrrev_b32_e32 v25, 16, v23
	v_cvt_f16_i16_sdwa v23, sext(v23) dst_sel:DWORD dst_unused:UNUSED_PAD src0_sel:BYTE_0
	v_pk_mul_f16 v24, v24, v22
	v_cvt_f16_i16_sdwa v25, sext(v25) dst_sel:DWORD dst_unused:UNUSED_PAD src0_sel:BYTE_0
	v_pk_fma_f16 v26, v24, v28, v26
	v_pack_b32_f16 v23, v23, v25
	v_pk_mul_f16 v22, v23, v22
	v_pk_fma_f16 v27, v22, v28, v27
	v_add_co_u32 v28, vcc_lo, s3, v129
	v_add_co_ci_u32_e64 v29, null, s19, v136, vcc_lo
	v_add_co_u32 v22, vcc_lo, v28, v147
	v_add_co_ci_u32_e64 v23, null, v29, v145, vcc_lo
	;; [unrolled: 2-line block ×3, first 2 shown]
	s_clause 0x1
	global_load_ushort v22, v[22:23], off
	global_load_dword v23, v[24:25], off offset:2
	s_waitcnt vmcnt(1)
	v_mul_u32_u24_e32 v22, 0x10001, v22
	s_waitcnt vmcnt(0)
	v_pk_lshrrev_b16 v24, 8, v23 op_sel:[1,0] op_sel_hi:[0,0]
	v_pk_lshrrev_b16 v23, 8, v23 op_sel:[1,1] op_sel_hi:[0,1]
	v_lshrrev_b32_e32 v25, 16, v24
	v_cvt_f16_i16_sdwa v24, sext(v24) dst_sel:DWORD dst_unused:UNUSED_PAD src0_sel:BYTE_0
	v_cvt_f16_i16_sdwa v25, sext(v25) dst_sel:DWORD dst_unused:UNUSED_PAD src0_sel:BYTE_0
	v_pack_b32_f16 v24, v24, v25
	v_lshrrev_b32_e32 v25, 16, v23
	v_cvt_f16_i16_sdwa v23, sext(v23) dst_sel:DWORD dst_unused:UNUSED_PAD src0_sel:BYTE_0
	v_pk_mul_f16 v24, v24, v22
	v_cvt_f16_i16_sdwa v25, sext(v25) dst_sel:DWORD dst_unused:UNUSED_PAD src0_sel:BYTE_0
	v_pk_fma_f16 v30, v24, v18, v31
	v_pack_b32_f16 v23, v23, v25
	v_pk_mul_f16 v22, v23, v22
	v_pk_fma_f16 v31, v22, v18, v32
	v_add_co_u32 v22, vcc_lo, v28, v148
	v_add_co_ci_u32_e64 v23, null, v29, v146, vcc_lo
	v_add_co_u32 v24, vcc_lo, v22, v109
	v_add_co_ci_u32_e64 v25, null, 0, v23, vcc_lo
	global_load_ushort v22, v[22:23], off
	v_add_co_u32 v28, vcc_lo, s3, v130
	global_load_dword v23, v[24:25], off offset:2
	v_add_co_ci_u32_e64 v29, null, s19, v137, vcc_lo
	s_waitcnt vmcnt(1)
	v_mul_u32_u24_e32 v22, 0x10001, v22
	s_waitcnt vmcnt(0)
	v_pk_lshrrev_b16 v24, 8, v23 op_sel:[1,0] op_sel_hi:[0,0]
	v_pk_lshrrev_b16 v23, 8, v23 op_sel:[1,1] op_sel_hi:[0,1]
	v_lshrrev_b32_e32 v25, 16, v24
	v_cvt_f16_i16_sdwa v24, sext(v24) dst_sel:DWORD dst_unused:UNUSED_PAD src0_sel:BYTE_0
	v_cvt_f16_i16_sdwa v25, sext(v25) dst_sel:DWORD dst_unused:UNUSED_PAD src0_sel:BYTE_0
	v_pack_b32_f16 v24, v24, v25
	v_lshrrev_b32_e32 v25, 16, v23
	v_cvt_f16_i16_sdwa v23, sext(v23) dst_sel:DWORD dst_unused:UNUSED_PAD src0_sel:BYTE_0
	v_pk_mul_f16 v24, v24, v22
	v_cvt_f16_i16_sdwa v25, sext(v25) dst_sel:DWORD dst_unused:UNUSED_PAD src0_sel:BYTE_0
	v_pk_fma_f16 v26, v24, v18, v26
	v_pack_b32_f16 v23, v23, v25
	v_pk_mul_f16 v22, v23, v22
	v_pk_fma_f16 v18, v22, v18, v27
	v_add_co_u32 v22, vcc_lo, v28, v147
	v_add_co_ci_u32_e64 v23, null, v29, v145, vcc_lo
	v_mul_u32_u24_sdwa v27, v19, v83 dst_sel:DWORD dst_unused:UNUSED_PAD src0_sel:WORD_0 src1_sel:DWORD
	v_add_co_u32 v24, vcc_lo, v22, v82
	v_add_co_ci_u32_e64 v25, null, 0, v23, vcc_lo
	s_clause 0x1
	global_load_ushort v22, v[22:23], off
	global_load_dword v23, v[24:25], off offset:2
	s_waitcnt vmcnt(1)
	v_mul_u32_u24_e32 v22, 0x10001, v22
	s_waitcnt vmcnt(0)
	v_pk_lshrrev_b16 v24, 8, v23 op_sel:[1,0] op_sel_hi:[0,0]
	v_pk_lshrrev_b16 v23, 8, v23 op_sel:[1,1] op_sel_hi:[0,1]
	v_lshrrev_b32_e32 v25, 16, v24
	v_cvt_f16_i16_sdwa v24, sext(v24) dst_sel:DWORD dst_unused:UNUSED_PAD src0_sel:BYTE_0
	v_cvt_f16_i16_sdwa v25, sext(v25) dst_sel:DWORD dst_unused:UNUSED_PAD src0_sel:BYTE_0
	v_pack_b32_f16 v24, v24, v25
	v_lshrrev_b32_e32 v25, 16, v23
	v_cvt_f16_i16_sdwa v23, sext(v23) dst_sel:DWORD dst_unused:UNUSED_PAD src0_sel:BYTE_0
	v_pk_mul_f16 v24, v24, v22
	v_cvt_f16_i16_sdwa v25, sext(v25) dst_sel:DWORD dst_unused:UNUSED_PAD src0_sel:BYTE_0
	v_pk_fma_f16 v30, v24, v27, v30
	v_pack_b32_f16 v23, v23, v25
	v_pk_mul_f16 v22, v23, v22
	v_pk_fma_f16 v31, v22, v27, v31
	v_add_co_u32 v22, vcc_lo, v28, v148
	v_add_co_ci_u32_e64 v23, null, v29, v146, vcc_lo
	v_add_co_u32 v24, vcc_lo, v22, v109
	v_add_co_ci_u32_e64 v25, null, 0, v23, vcc_lo
	s_clause 0x1
	global_load_ushort v22, v[22:23], off
	global_load_dword v23, v[24:25], off offset:2
	s_waitcnt vmcnt(1)
	v_mul_u32_u24_e32 v22, 0x10001, v22
	s_waitcnt vmcnt(0)
	v_pk_lshrrev_b16 v24, 8, v23 op_sel:[1,0] op_sel_hi:[0,0]
	v_pk_lshrrev_b16 v23, 8, v23 op_sel:[1,1] op_sel_hi:[0,1]
	v_lshrrev_b32_e32 v25, 16, v24
	v_cvt_f16_i16_sdwa v24, sext(v24) dst_sel:DWORD dst_unused:UNUSED_PAD src0_sel:BYTE_0
	v_cvt_f16_i16_sdwa v25, sext(v25) dst_sel:DWORD dst_unused:UNUSED_PAD src0_sel:BYTE_0
	v_pack_b32_f16 v24, v24, v25
	v_lshrrev_b32_e32 v25, 16, v23
	v_cvt_f16_i16_sdwa v23, sext(v23) dst_sel:DWORD dst_unused:UNUSED_PAD src0_sel:BYTE_0
	v_pk_mul_f16 v24, v24, v22
	v_cvt_f16_i16_sdwa v25, sext(v25) dst_sel:DWORD dst_unused:UNUSED_PAD src0_sel:BYTE_0
	v_pk_fma_f16 v24, v24, v27, v26
	v_pack_b32_f16 v23, v23, v25
	v_mul_u32_u24_sdwa v26, v19, v83 dst_sel:DWORD dst_unused:UNUSED_PAD src0_sel:WORD_1 src1_sel:DWORD
	v_pk_mul_f16 v22, v23, v22
	v_pk_fma_f16 v25, v22, v27, v18
	v_add_co_u32 v27, vcc_lo, s3, v131
	v_add_co_ci_u32_e64 v28, null, s19, v139, vcc_lo
	v_add_co_u32 v18, vcc_lo, v27, v147
	v_add_co_ci_u32_e64 v19, null, v28, v145, vcc_lo
	;; [unrolled: 2-line block ×3, first 2 shown]
	s_clause 0x1
	global_load_ushort v18, v[18:19], off
	global_load_dword v19, v[22:23], off offset:2
	s_waitcnt vmcnt(1)
	v_mul_u32_u24_e32 v18, 0x10001, v18
	s_waitcnt vmcnt(0)
	v_pk_lshrrev_b16 v22, 8, v19 op_sel:[1,0] op_sel_hi:[0,0]
	v_pk_lshrrev_b16 v19, 8, v19 op_sel:[1,1] op_sel_hi:[0,1]
	v_lshrrev_b32_e32 v23, 16, v22
	v_cvt_f16_i16_sdwa v22, sext(v22) dst_sel:DWORD dst_unused:UNUSED_PAD src0_sel:BYTE_0
	v_cvt_f16_i16_sdwa v23, sext(v23) dst_sel:DWORD dst_unused:UNUSED_PAD src0_sel:BYTE_0
	v_pack_b32_f16 v22, v22, v23
	v_lshrrev_b32_e32 v23, 16, v19
	v_cvt_f16_i16_sdwa v19, sext(v19) dst_sel:DWORD dst_unused:UNUSED_PAD src0_sel:BYTE_0
	v_pk_mul_f16 v22, v22, v18
	v_cvt_f16_i16_sdwa v23, sext(v23) dst_sel:DWORD dst_unused:UNUSED_PAD src0_sel:BYTE_0
	v_pk_fma_f16 v29, v22, v26, v30
	v_pack_b32_f16 v19, v19, v23
	v_pk_mul_f16 v18, v19, v18
	v_pk_fma_f16 v30, v18, v26, v31
	v_add_co_u32 v18, vcc_lo, v27, v148
	v_add_co_ci_u32_e64 v19, null, v28, v146, vcc_lo
	v_add_co_u32 v22, vcc_lo, v18, v109
	v_add_co_ci_u32_e64 v23, null, 0, v19, vcc_lo
	global_load_ushort v18, v[18:19], off
	v_add_co_u32 v27, vcc_lo, s3, v132
	global_load_dword v19, v[22:23], off offset:2
	v_add_co_ci_u32_e64 v28, null, s19, v140, vcc_lo
	s_waitcnt vmcnt(1)
	v_mul_u32_u24_e32 v18, 0x10001, v18
	s_waitcnt vmcnt(0)
	v_pk_lshrrev_b16 v22, 8, v19 op_sel:[1,0] op_sel_hi:[0,0]
	v_pk_lshrrev_b16 v19, 8, v19 op_sel:[1,1] op_sel_hi:[0,1]
	v_lshrrev_b32_e32 v23, 16, v22
	v_cvt_f16_i16_sdwa v22, sext(v22) dst_sel:DWORD dst_unused:UNUSED_PAD src0_sel:BYTE_0
	v_cvt_f16_i16_sdwa v23, sext(v23) dst_sel:DWORD dst_unused:UNUSED_PAD src0_sel:BYTE_0
	v_pack_b32_f16 v22, v22, v23
	v_lshrrev_b32_e32 v23, 16, v19
	v_cvt_f16_i16_sdwa v19, sext(v19) dst_sel:DWORD dst_unused:UNUSED_PAD src0_sel:BYTE_0
	v_pk_mul_f16 v22, v22, v18
	v_cvt_f16_i16_sdwa v23, sext(v23) dst_sel:DWORD dst_unused:UNUSED_PAD src0_sel:BYTE_0
	v_pk_fma_f16 v24, v22, v26, v24
	v_pack_b32_f16 v19, v19, v23
	v_pk_mul_f16 v18, v19, v18
	v_pk_fma_f16 v25, v18, v26, v25
	v_add_co_u32 v18, vcc_lo, v27, v147
	v_add_co_ci_u32_e64 v19, null, v28, v145, vcc_lo
	v_mul_u32_u24_sdwa v26, v20, v83 dst_sel:DWORD dst_unused:UNUSED_PAD src0_sel:WORD_0 src1_sel:DWORD
	v_add_co_u32 v22, vcc_lo, v18, v82
	v_add_co_ci_u32_e64 v23, null, 0, v19, vcc_lo
	global_load_ushort v18, v[18:19], off
	v_mul_u32_u24_sdwa v20, v20, v83 dst_sel:DWORD dst_unused:UNUSED_PAD src0_sel:WORD_1 src1_sel:DWORD
	global_load_dword v19, v[22:23], off offset:2
	s_waitcnt vmcnt(1)
	v_mul_u32_u24_e32 v18, 0x10001, v18
	s_waitcnt vmcnt(0)
	v_pk_lshrrev_b16 v22, 8, v19 op_sel:[1,0] op_sel_hi:[0,0]
	v_pk_lshrrev_b16 v19, 8, v19 op_sel:[1,1] op_sel_hi:[0,1]
	v_lshrrev_b32_e32 v23, 16, v22
	v_cvt_f16_i16_sdwa v22, sext(v22) dst_sel:DWORD dst_unused:UNUSED_PAD src0_sel:BYTE_0
	v_cvt_f16_i16_sdwa v23, sext(v23) dst_sel:DWORD dst_unused:UNUSED_PAD src0_sel:BYTE_0
	v_pack_b32_f16 v22, v22, v23
	v_lshrrev_b32_e32 v23, 16, v19
	v_cvt_f16_i16_sdwa v19, sext(v19) dst_sel:DWORD dst_unused:UNUSED_PAD src0_sel:BYTE_0
	v_pk_mul_f16 v22, v22, v18
	v_cvt_f16_i16_sdwa v23, sext(v23) dst_sel:DWORD dst_unused:UNUSED_PAD src0_sel:BYTE_0
	v_pk_fma_f16 v29, v22, v26, v29
	v_pack_b32_f16 v19, v19, v23
	v_pk_mul_f16 v18, v19, v18
	v_pk_fma_f16 v30, v18, v26, v30
	v_add_co_u32 v18, vcc_lo, v27, v148
	v_add_co_ci_u32_e64 v19, null, v28, v146, vcc_lo
	v_add_co_u32 v22, vcc_lo, v18, v109
	v_add_co_ci_u32_e64 v23, null, 0, v19, vcc_lo
	s_clause 0x1
	global_load_ushort v18, v[18:19], off
	global_load_dword v19, v[22:23], off offset:2
	s_waitcnt vmcnt(1)
	v_mul_u32_u24_e32 v18, 0x10001, v18
	s_waitcnt vmcnt(0)
	v_pk_lshrrev_b16 v22, 8, v19 op_sel:[1,0] op_sel_hi:[0,0]
	v_pk_lshrrev_b16 v19, 8, v19 op_sel:[1,1] op_sel_hi:[0,1]
	v_lshrrev_b32_e32 v23, 16, v22
	v_cvt_f16_i16_sdwa v22, sext(v22) dst_sel:DWORD dst_unused:UNUSED_PAD src0_sel:BYTE_0
	v_cvt_f16_i16_sdwa v23, sext(v23) dst_sel:DWORD dst_unused:UNUSED_PAD src0_sel:BYTE_0
	v_pack_b32_f16 v22, v22, v23
	v_lshrrev_b32_e32 v23, 16, v19
	v_cvt_f16_i16_sdwa v19, sext(v19) dst_sel:DWORD dst_unused:UNUSED_PAD src0_sel:BYTE_0
	v_pk_mul_f16 v22, v22, v18
	v_cvt_f16_i16_sdwa v23, sext(v23) dst_sel:DWORD dst_unused:UNUSED_PAD src0_sel:BYTE_0
	v_pk_fma_f16 v24, v22, v26, v24
	v_pack_b32_f16 v19, v19, v23
	v_pk_mul_f16 v18, v19, v18
	v_pk_fma_f16 v25, v18, v26, v25
	v_add_co_u32 v26, vcc_lo, s3, v134
	v_add_co_ci_u32_e64 v27, null, s19, v141, vcc_lo
	v_add_co_u32 v18, vcc_lo, v26, v147
	v_add_co_ci_u32_e64 v19, null, v27, v145, vcc_lo
	;; [unrolled: 2-line block ×3, first 2 shown]
	s_clause 0x1
	global_load_ushort v18, v[18:19], off
	global_load_dword v19, v[22:23], off offset:2
	s_waitcnt vmcnt(1)
	v_mul_u32_u24_e32 v18, 0x10001, v18
	s_waitcnt vmcnt(0)
	v_pk_lshrrev_b16 v22, 8, v19 op_sel:[1,0] op_sel_hi:[0,0]
	v_pk_lshrrev_b16 v19, 8, v19 op_sel:[1,1] op_sel_hi:[0,1]
	v_lshrrev_b32_e32 v23, 16, v22
	v_cvt_f16_i16_sdwa v22, sext(v22) dst_sel:DWORD dst_unused:UNUSED_PAD src0_sel:BYTE_0
	v_cvt_f16_i16_sdwa v23, sext(v23) dst_sel:DWORD dst_unused:UNUSED_PAD src0_sel:BYTE_0
	v_pack_b32_f16 v22, v22, v23
	v_lshrrev_b32_e32 v23, 16, v19
	v_cvt_f16_i16_sdwa v19, sext(v19) dst_sel:DWORD dst_unused:UNUSED_PAD src0_sel:BYTE_0
	v_pk_mul_f16 v22, v22, v18
	v_cvt_f16_i16_sdwa v23, sext(v23) dst_sel:DWORD dst_unused:UNUSED_PAD src0_sel:BYTE_0
	v_pk_fma_f16 v28, v22, v20, v29
	v_pack_b32_f16 v19, v19, v23
	v_pk_mul_f16 v18, v19, v18
	v_pk_fma_f16 v29, v18, v20, v30
	v_add_co_u32 v18, vcc_lo, v26, v148
	v_add_co_ci_u32_e64 v19, null, v27, v146, vcc_lo
	v_add_co_u32 v22, vcc_lo, v18, v109
	v_add_co_ci_u32_e64 v23, null, 0, v19, vcc_lo
	global_load_ushort v18, v[18:19], off
	v_add_co_u32 v26, vcc_lo, s3, v135
	global_load_dword v19, v[22:23], off offset:2
	v_add_co_ci_u32_e64 v27, null, s19, v142, vcc_lo
	s_waitcnt vmcnt(1)
	v_mul_u32_u24_e32 v18, 0x10001, v18
	s_waitcnt vmcnt(0)
	v_pk_lshrrev_b16 v22, 8, v19 op_sel:[1,0] op_sel_hi:[0,0]
	v_pk_lshrrev_b16 v19, 8, v19 op_sel:[1,1] op_sel_hi:[0,1]
	v_lshrrev_b32_e32 v23, 16, v22
	v_cvt_f16_i16_sdwa v22, sext(v22) dst_sel:DWORD dst_unused:UNUSED_PAD src0_sel:BYTE_0
	v_cvt_f16_i16_sdwa v23, sext(v23) dst_sel:DWORD dst_unused:UNUSED_PAD src0_sel:BYTE_0
	v_pack_b32_f16 v22, v22, v23
	v_lshrrev_b32_e32 v23, 16, v19
	v_cvt_f16_i16_sdwa v19, sext(v19) dst_sel:DWORD dst_unused:UNUSED_PAD src0_sel:BYTE_0
	v_pk_mul_f16 v22, v22, v18
	v_cvt_f16_i16_sdwa v23, sext(v23) dst_sel:DWORD dst_unused:UNUSED_PAD src0_sel:BYTE_0
	v_pk_fma_f16 v24, v22, v20, v24
	v_pack_b32_f16 v19, v19, v23
	v_pk_mul_f16 v18, v19, v18
	v_pk_fma_f16 v20, v18, v20, v25
	v_add_co_u32 v18, vcc_lo, v26, v147
	v_add_co_ci_u32_e64 v19, null, v27, v145, vcc_lo
	v_mul_u32_u24_sdwa v25, v21, v83 dst_sel:DWORD dst_unused:UNUSED_PAD src0_sel:WORD_0 src1_sel:DWORD
	v_add_co_u32 v22, vcc_lo, v18, v82
	v_add_co_ci_u32_e64 v23, null, 0, v19, vcc_lo
	s_clause 0x1
	global_load_ushort v18, v[18:19], off
	global_load_dword v19, v[22:23], off offset:2
	s_waitcnt vmcnt(1)
	v_mul_u32_u24_e32 v18, 0x10001, v18
	s_waitcnt vmcnt(0)
	v_pk_lshrrev_b16 v22, 8, v19 op_sel:[1,0] op_sel_hi:[0,0]
	v_pk_lshrrev_b16 v19, 8, v19 op_sel:[1,1] op_sel_hi:[0,1]
	v_lshrrev_b32_e32 v23, 16, v22
	v_cvt_f16_i16_sdwa v22, sext(v22) dst_sel:DWORD dst_unused:UNUSED_PAD src0_sel:BYTE_0
	v_cvt_f16_i16_sdwa v23, sext(v23) dst_sel:DWORD dst_unused:UNUSED_PAD src0_sel:BYTE_0
	v_pack_b32_f16 v22, v22, v23
	v_lshrrev_b32_e32 v23, 16, v19
	v_cvt_f16_i16_sdwa v19, sext(v19) dst_sel:DWORD dst_unused:UNUSED_PAD src0_sel:BYTE_0
	v_pk_mul_f16 v22, v22, v18
	v_cvt_f16_i16_sdwa v23, sext(v23) dst_sel:DWORD dst_unused:UNUSED_PAD src0_sel:BYTE_0
	v_pk_fma_f16 v28, v22, v25, v28
	v_pack_b32_f16 v19, v19, v23
	v_pk_mul_f16 v18, v19, v18
	v_pk_fma_f16 v29, v18, v25, v29
	v_add_co_u32 v18, vcc_lo, v26, v148
	v_add_co_ci_u32_e64 v19, null, v27, v146, vcc_lo
	v_add_co_u32 v22, vcc_lo, v18, v109
	v_add_co_ci_u32_e64 v23, null, 0, v19, vcc_lo
	global_load_ushort v18, v[18:19], off
	v_add_co_u32 v26, vcc_lo, s3, v138
	global_load_dword v19, v[22:23], off offset:2
	v_add_co_ci_u32_e64 v27, null, s19, v143, vcc_lo
	s_add_u32 s3, s3, s18
	s_addc_u32 s19, s19, 0
	s_add_u32 s10, s10, s12
	s_addc_u32 s11, s11, s13
	s_cmp_ge_i32 s2, s34
	s_waitcnt vmcnt(1)
	v_mul_u32_u24_e32 v18, 0x10001, v18
	s_waitcnt vmcnt(0)
	v_pk_lshrrev_b16 v22, 8, v19 op_sel:[1,0] op_sel_hi:[0,0]
	v_pk_lshrrev_b16 v19, 8, v19 op_sel:[1,1] op_sel_hi:[0,1]
	v_lshrrev_b32_e32 v23, 16, v22
	v_cvt_f16_i16_sdwa v22, sext(v22) dst_sel:DWORD dst_unused:UNUSED_PAD src0_sel:BYTE_0
	v_cvt_f16_i16_sdwa v23, sext(v23) dst_sel:DWORD dst_unused:UNUSED_PAD src0_sel:BYTE_0
	v_pack_b32_f16 v22, v22, v23
	v_lshrrev_b32_e32 v23, 16, v19
	v_cvt_f16_i16_sdwa v19, sext(v19) dst_sel:DWORD dst_unused:UNUSED_PAD src0_sel:BYTE_0
	v_pk_mul_f16 v22, v22, v18
	v_cvt_f16_i16_sdwa v23, sext(v23) dst_sel:DWORD dst_unused:UNUSED_PAD src0_sel:BYTE_0
	v_pack_b32_f16 v19, v19, v23
	v_pk_mul_f16 v19, v19, v18
	v_pk_fma_f16 v18, v22, v25, v24
	v_pk_fma_f16 v19, v19, v25, v20
	v_mul_u32_u24_sdwa v20, v21, v83 dst_sel:DWORD dst_unused:UNUSED_PAD src0_sel:WORD_1 src1_sel:DWORD
	v_add_co_u32 v21, vcc_lo, v26, v147
	v_add_co_ci_u32_e64 v22, null, v27, v145, vcc_lo
	v_add_co_u32 v23, vcc_lo, v21, v82
	v_add_co_ci_u32_e64 v24, null, 0, v22, vcc_lo
	s_clause 0x1
	global_load_ushort v21, v[21:22], off
	global_load_dword v22, v[23:24], off offset:2
	s_waitcnt vmcnt(1)
	v_mul_u32_u24_e32 v21, 0x10001, v21
	s_waitcnt vmcnt(0)
	v_pk_lshrrev_b16 v23, 8, v22 op_sel:[1,0] op_sel_hi:[0,0]
	v_pk_lshrrev_b16 v22, 8, v22 op_sel:[1,1] op_sel_hi:[0,1]
	v_lshrrev_b32_e32 v24, 16, v23
	v_cvt_f16_i16_sdwa v23, sext(v23) dst_sel:DWORD dst_unused:UNUSED_PAD src0_sel:BYTE_0
	v_cvt_f16_i16_sdwa v24, sext(v24) dst_sel:DWORD dst_unused:UNUSED_PAD src0_sel:BYTE_0
	v_pack_b32_f16 v23, v23, v24
	v_lshrrev_b32_e32 v24, 16, v22
	v_cvt_f16_i16_sdwa v22, sext(v22) dst_sel:DWORD dst_unused:UNUSED_PAD src0_sel:BYTE_0
	v_pk_mul_f16 v23, v23, v21
	v_cvt_f16_i16_sdwa v24, sext(v24) dst_sel:DWORD dst_unused:UNUSED_PAD src0_sel:BYTE_0
	v_pack_b32_f16 v22, v22, v24
	v_pk_fma_f16 v24, v23, v20, v28
	v_pk_mul_f16 v21, v22, v21
	v_pk_fma_f16 v25, v21, v20, v29
	v_add_co_u32 v21, vcc_lo, v26, v148
	v_add_co_ci_u32_e64 v22, null, v27, v146, vcc_lo
	v_add_co_u32 v26, vcc_lo, v21, v109
	v_add_co_ci_u32_e64 v27, null, 0, v22, vcc_lo
	s_clause 0x1
	global_load_ushort v21, v[21:22], off
	global_load_dword v22, v[26:27], off offset:2
	s_waitcnt vmcnt(1)
	v_mul_u32_u24_e32 v21, 0x10001, v21
	s_waitcnt vmcnt(0)
	v_pk_lshrrev_b16 v23, 8, v22 op_sel:[1,0] op_sel_hi:[0,0]
	v_pk_lshrrev_b16 v22, 8, v22 op_sel:[1,1] op_sel_hi:[0,1]
	v_lshrrev_b32_e32 v26, 16, v23
	v_cvt_f16_i16_sdwa v23, sext(v23) dst_sel:DWORD dst_unused:UNUSED_PAD src0_sel:BYTE_0
	v_cvt_f16_i16_sdwa v26, sext(v26) dst_sel:DWORD dst_unused:UNUSED_PAD src0_sel:BYTE_0
	v_pack_b32_f16 v23, v23, v26
	v_lshrrev_b32_e32 v26, 16, v22
	v_cvt_f16_i16_sdwa v22, sext(v22) dst_sel:DWORD dst_unused:UNUSED_PAD src0_sel:BYTE_0
	v_pk_mul_f16 v23, v23, v21
	v_cvt_f16_i16_sdwa v26, sext(v26) dst_sel:DWORD dst_unused:UNUSED_PAD src0_sel:BYTE_0
	v_pk_fma_f16 v27, v23, v20, v18
	v_pack_b32_f16 v22, v22, v26
	v_pk_mul_f16 v21, v22, v21
	v_pk_fma_f16 v26, v21, v20, v19
	s_cbranch_scc1 .LBB23_22
; %bb.20:                               ;   in Loop: Header=BB23_15 Depth=1
	v_mov_b32_e32 v28, v144
	s_branch .LBB23_15
.LBB23_21:
	v_mov_b32_e32 v24, 0
	v_mov_b32_e32 v144, 0xfeffffff
	;; [unrolled: 1-line block ×5, first 2 shown]
.LBB23_22:
	v_or_b32_e32 v2, s7, v1
	s_cmp_lg_u64 s[16:17], 0
	s_cselect_b32 s1, -1, 0
	v_cmp_eq_u32_e32 vcc_lo, 0, v2
	s_and_b32 s2, vcc_lo, s1
	s_and_saveexec_b32 s1, s2
	s_cbranch_execz .LBB23_24
; %bb.23:
	s_lshl_b64 s[2:3], s[30:31], 2
	v_max_f32_e32 v2, v144, v144
	s_add_u32 s2, s16, s2
	s_addc_u32 s3, s17, s3
	s_load_dword s2, s[2:3], 0x0
	s_waitcnt lgkmcnt(0)
	v_max_f32_e64 v3, s2, s2
	v_max_f32_e32 v2, v2, v3
	v_sub_f32_e32 v3, v144, v2
	v_sub_f32_e32 v4, s2, v2
	v_mov_b32_e32 v144, v2
	v_mul_f32_e32 v5, 0x3fb8aa3b, v3
	v_mul_f32_e32 v6, 0x3fb8aa3b, v4
	v_cmp_ngt_f32_e32 vcc_lo, 0xc2ce8ed0, v3
	v_fma_f32 v7, 0x3fb8aa3b, v3, -v5
	v_rndne_f32_e32 v8, v5
	v_fma_f32 v9, 0x3fb8aa3b, v4, -v6
	v_rndne_f32_e32 v10, v6
	v_fmac_f32_e32 v7, 0x32a5705f, v3
	v_sub_f32_e32 v5, v5, v8
	v_fmac_f32_e32 v9, 0x32a5705f, v4
	v_sub_f32_e32 v6, v6, v10
	v_add_f32_e32 v5, v5, v7
	v_cvt_i32_f32_e32 v7, v8
	v_add_f32_e32 v6, v6, v9
	v_cvt_i32_f32_e32 v8, v10
	v_exp_f32_e32 v5, v5
	v_exp_f32_e32 v6, v6
	v_ldexp_f32 v5, v5, v7
	v_ldexp_f32 v6, v6, v8
	v_cndmask_b32_e32 v5, 0, v5, vcc_lo
	v_cmp_ngt_f32_e32 vcc_lo, 0xc2ce8ed0, v4
	v_cndmask_b32_e32 v6, 0, v6, vcc_lo
	v_cmp_nlt_f32_e32 vcc_lo, 0x42b17218, v3
	v_cndmask_b32_e32 v3, 0x7f800000, v5, vcc_lo
	v_cmp_nlt_f32_e32 vcc_lo, 0x42b17218, v4
	v_mov_b32_e32 v5, 0x10001
	v_cndmask_b32_e32 v4, 0x7f800000, v6, vcc_lo
	v_cmp_eq_u32_e32 vcc_lo, 0, v0
	v_cvt_f16_f32_e32 v6, v3
	v_cndmask_b32_e32 v4, 0, v4, vcc_lo
	v_mul_u32_u24_sdwa v5, v6, v5 dst_sel:DWORD dst_unused:UNUSED_PAD src0_sel:WORD_0 src1_sel:DWORD
	v_fmac_f32_e32 v4, v77, v3
	v_pk_mul_f16 v24, v24, v5
	v_pk_mul_f16 v25, v25, v5
	;; [unrolled: 1-line block ×4, first 2 shown]
	v_mov_b32_e32 v77, v4
.LBB23_24:
	s_or_b32 exec_lo, exec_lo, s1
	s_and_saveexec_b32 s1, s0
	s_cbranch_execz .LBB23_26
; %bb.25:
	v_mov_b32_e32 v2, 0xfeffffff
	v_mov_b32_e32 v3, 0
	v_add_nc_u32_e32 v4, 0x800, v70
	ds_write2_b32 v4, v2, v3 offset1:32
.LBB23_26:
	s_or_b32 exec_lo, exec_lo, s1
	v_cmp_eq_u32_e32 vcc_lo, 0, v0
	v_lshlrev_b32_e32 v4, 2, v1
	s_waitcnt lgkmcnt(0)
	s_barrier
	buffer_gl0_inv
	s_and_saveexec_b32 s0, vcc_lo
; %bb.27:
	ds_write_b32 v4, v144 offset:2048
; %bb.28:
	s_or_b32 exec_lo, exec_lo, s0
	s_waitcnt lgkmcnt(0)
	s_barrier
	buffer_gl0_inv
	ds_read_b32 v2, v70 offset:2048
	v_xor_b32_e32 v3, 16, v66
	v_xor_b32_e32 v6, 8, v66
	v_xor_b32_e32 v7, 4, v66
	v_xor_b32_e32 v8, 2, v66
	v_xor_b32_e32 v9, 1, v66
	v_cmp_gt_i32_e64 s0, 32, v3
	s_load_dword s1, s[4:5], 0xd4
	v_lshlrev_b32_e32 v0, 3, v0
	v_cndmask_b32_e64 v3, v66, v3, s0
	v_cmp_gt_i32_e64 s0, 32, v6
	v_lshl_add_u32 v0, v1, 9, v0
	v_lshlrev_b32_e32 v5, 2, v3
	v_cndmask_b32_e64 v6, v66, v6, s0
	v_cmp_gt_i32_e64 s0, 32, v7
	s_waitcnt lgkmcnt(0)
	ds_bpermute_b32 v3, v5, v2
	v_max_f32_e32 v2, v2, v2
	v_lshlrev_b32_e32 v6, 2, v6
	v_cndmask_b32_e64 v7, v66, v7, s0
	v_cmp_gt_i32_e64 s0, 32, v8
	v_lshlrev_b32_e32 v7, 2, v7
	v_cndmask_b32_e64 v8, v66, v8, s0
	v_cmp_gt_i32_e64 s0, 32, v9
	v_lshlrev_b32_e32 v8, 2, v8
	v_cndmask_b32_e64 v9, v66, v9, s0
	s_waitcnt lgkmcnt(0)
	v_max_f32_e32 v3, v3, v3
	v_max_f32_e32 v2, v2, v3
	ds_bpermute_b32 v3, v6, v2
	s_waitcnt lgkmcnt(0)
	v_max_f32_e32 v3, v3, v3
	v_max_f32_e32 v2, v2, v3
	ds_bpermute_b32 v3, v7, v2
	s_waitcnt lgkmcnt(0)
	v_max_f32_e32 v3, v3, v3
	v_max_f32_e32 v2, v2, v3
	ds_bpermute_b32 v3, v8, v2
	s_waitcnt lgkmcnt(0)
	v_max_f32_e32 v10, v3, v3
	v_lshlrev_b32_e32 v3, 2, v9
	v_max_f32_e32 v2, v2, v10
	ds_bpermute_b32 v9, v3, v2
	s_waitcnt lgkmcnt(0)
	v_max_f32_e32 v9, v9, v9
	v_max_f32_e32 v2, v2, v9
	v_sub_f32_e32 v9, v144, v2
	v_mul_f32_e32 v10, 0x3fb8aa3b, v9
	v_cmp_ngt_f32_e64 s0, 0xc2ce8ed0, v9
	v_fma_f32 v11, 0x3fb8aa3b, v9, -v10
	v_rndne_f32_e32 v12, v10
	v_fmamk_f32 v11, v9, 0x32a5705f, v11
	v_sub_f32_e32 v10, v10, v12
	v_add_f32_e32 v10, v10, v11
	v_cvt_i32_f32_e32 v11, v12
	v_mov_b32_e32 v12, 0x10001
	v_exp_f32_e32 v10, v10
	v_ldexp_f32 v10, v10, v11
	v_cndmask_b32_e64 v10, 0, v10, s0
	v_cmp_nlt_f32_e64 s0, 0x42b17218, v9
	v_cndmask_b32_e64 v10, 0x7f800000, v10, s0
	v_mul_f32_e32 v9, v77, v10
	ds_bpermute_b32 v9, v5, v9
	s_waitcnt lgkmcnt(0)
	v_fmac_f32_e32 v9, v77, v10
	ds_bpermute_b32 v11, v6, v9
	s_waitcnt lgkmcnt(0)
	v_add_f32_e32 v9, v9, v11
	ds_bpermute_b32 v11, v7, v9
	s_waitcnt lgkmcnt(0)
	v_add_f32_e32 v9, v9, v11
	;; [unrolled: 3-line block ×3, first 2 shown]
	v_cvt_f16_f32_e32 v11, v10
	ds_bpermute_b32 v10, v3, v9
	v_mul_u32_u24_sdwa v14, v11, v12 dst_sel:DWORD dst_unused:UNUSED_PAD src0_sel:WORD_0 src1_sel:DWORD
	v_pk_mul_f16 v11, v24, v14
	v_pk_mul_f16 v12, v25, v14
	;; [unrolled: 1-line block ×4, first 2 shown]
	ds_write2_b64 v0, v[11:12], v[13:14] offset1:32
	s_and_saveexec_b32 s0, vcc_lo
	s_cbranch_execz .LBB23_30
; %bb.29:
	s_waitcnt lgkmcnt(1)
	v_add_f32_e32 v0, v9, v10
	ds_write_b32 v4, v0 offset:2176
.LBB23_30:
	s_or_b32 exec_lo, exec_lo, s0
	s_waitcnt lgkmcnt(0)
	s_barrier
	buffer_gl0_inv
	ds_read_b32 v0, v70 offset:2176
	s_mul_i32 s2, s33, s28
	s_mov_b32 s3, 0
	s_add_i32 s2, s2, s6
	s_mul_i32 s2, s2, s29
	s_add_i32 s2, s2, s30
	s_mul_i32 s2, s1, s2
	s_add_i32 s2, s2, s7
	s_cmp_eq_u32 s1, 1
	s_waitcnt lgkmcnt(0)
	ds_bpermute_b32 v1, v5, v0
	s_waitcnt lgkmcnt(0)
	v_add_f32_e32 v0, v0, v1
	ds_bpermute_b32 v1, v6, v0
	s_waitcnt lgkmcnt(0)
	v_add_f32_e32 v0, v0, v1
	;; [unrolled: 3-line block ×3, first 2 shown]
	ds_bpermute_b32 v1, v8, v0
	ds_read_u16 v4, v69
	ds_read_u16 v5, v69 offset:1792
	ds_read_u16 v6, v69 offset:1280
	ds_read_u16 v7, v69 offset:768
	ds_read_u16 v8, v69 offset:256
	ds_read_u16 v9, v69 offset:512
	ds_read_u16 v10, v69 offset:1024
	ds_read_u16 v11, v69 offset:1536
	s_waitcnt lgkmcnt(6)
	v_cvt_f32_f16_e32 v5, v5
	s_waitcnt lgkmcnt(5)
	v_cvt_f32_f16_e32 v6, v6
	;; [unrolled: 2-line block ×3, first 2 shown]
	v_add_f32_e32 v0, v0, v1
	v_cvt_f32_f16_e32 v1, v4
	s_waitcnt lgkmcnt(3)
	v_cvt_f32_f16_e32 v4, v8
	s_waitcnt lgkmcnt(2)
	;; [unrolled: 2-line block ×3, first 2 shown]
	v_cvt_f32_f16_e32 v9, v10
	ds_bpermute_b32 v3, v3, v0
	v_add_f32_e32 v1, 0, v1
	v_add_f32_e32 v4, 0, v4
	;; [unrolled: 1-line block ×4, first 2 shown]
	s_waitcnt lgkmcnt(1)
	v_cvt_f32_f16_e32 v7, v11
	v_add_f32_e32 v1, v1, v9
	v_add_f32_e32 v4, v4, v6
	;; [unrolled: 1-line block ×4, first 2 shown]
	s_waitcnt lgkmcnt(0)
	v_add_f32_e32 v3, v0, v3
	v_div_scale_f32 v0, null, v3, v3, v6
	v_div_scale_f32 v4, null, v3, v3, v7
	v_div_scale_f32 v10, vcc_lo, v6, v3, v6
	v_rcp_f32_e32 v5, v0
	v_rcp_f32_e32 v8, v4
	v_div_scale_f32 v11, s0, v7, v3, v7
	v_fma_f32 v1, -v0, v5, 1.0
	v_fma_f32 v9, -v4, v8, 1.0
	v_fmac_f32_e32 v5, v1, v5
	v_fmac_f32_e32 v8, v9, v8
	v_mul_f32_e32 v9, v10, v5
	v_mul_f32_e32 v12, v11, v8
	v_fma_f32 v1, -v0, v9, v10
	v_fma_f32 v13, -v4, v12, v11
	v_fmac_f32_e32 v9, v1, v5
	v_fmac_f32_e32 v12, v13, v8
	v_mov_b32_e32 v1, 0
	v_fma_f32 v10, -v0, v9, v10
	v_lshl_or_b32 v0, s2, 8, v68
	v_fma_f32 v4, -v4, v12, v11
	v_div_fmas_f32 v9, v10, v5, v9
	s_mov_b32 vcc_lo, s0
	v_div_fmas_f32 v8, v4, v8, v12
	v_lshlrev_b64 v[4:5], 2, v[0:1]
	v_div_fixup_f32 v0, v9, v3, v6
	v_cmp_eq_u32_e32 vcc_lo, 0, v68
	v_div_fixup_f32 v8, v8, v3, v7
	v_add_co_u32 v4, s0, s20, v4
	v_add_co_ci_u32_e64 v5, null, s21, v5, s0
	s_cselect_b32 s0, -1, 0
	s_cmp_lg_u32 s1, 1
	v_cndmask_b32_e64 v0, v6, v0, s0
	v_cndmask_b32_e64 v6, v7, v8, s0
	s_cselect_b32 s0, -1, 0
	s_and_b32 s0, vcc_lo, s0
	global_store_dword v[4:5], v0, off
	global_store_dword v[4:5], v6, off offset:512
	s_and_saveexec_b32 s1, s0
	s_cbranch_execz .LBB23_32
; %bb.31:
	s_lshl_b64 s[0:1], s[2:3], 3
	s_add_u32 s0, s22, s0
	s_addc_u32 s1, s23, s1
	global_store_dwordx2 v1, v[2:3], s[0:1]
.LBB23_32:
	s_endpgm
	.section	.rodata,"a",@progbits
	.p2align	6, 0x0
	.amdhsa_kernel _ZL18flash_attn_ext_vecILi256ELi1EL9ggml_type7ELS0_8ELb0EEvPKcS2_S2_S2_S2_PKiPfP15HIP_vector_typeIfLj2EEffffjfiS6_IjLj3EEiiiiiiiiiiiliiliiiiil
		.amdhsa_group_segment_fixed_size 2304
		.amdhsa_private_segment_fixed_size 0
		.amdhsa_kernarg_size 464
		.amdhsa_user_sgpr_count 6
		.amdhsa_user_sgpr_private_segment_buffer 1
		.amdhsa_user_sgpr_dispatch_ptr 0
		.amdhsa_user_sgpr_queue_ptr 0
		.amdhsa_user_sgpr_kernarg_segment_ptr 1
		.amdhsa_user_sgpr_dispatch_id 0
		.amdhsa_user_sgpr_flat_scratch_init 0
		.amdhsa_user_sgpr_private_segment_size 0
		.amdhsa_wavefront_size32 1
		.amdhsa_uses_dynamic_stack 0
		.amdhsa_system_sgpr_private_segment_wavefront_offset 0
		.amdhsa_system_sgpr_workgroup_id_x 1
		.amdhsa_system_sgpr_workgroup_id_y 1
		.amdhsa_system_sgpr_workgroup_id_z 1
		.amdhsa_system_sgpr_workgroup_info 0
		.amdhsa_system_vgpr_workitem_id 1
		.amdhsa_next_free_vgpr 160
		.amdhsa_next_free_sgpr 52
		.amdhsa_reserve_vcc 1
		.amdhsa_reserve_flat_scratch 0
		.amdhsa_float_round_mode_32 0
		.amdhsa_float_round_mode_16_64 0
		.amdhsa_float_denorm_mode_32 3
		.amdhsa_float_denorm_mode_16_64 3
		.amdhsa_dx10_clamp 1
		.amdhsa_ieee_mode 1
		.amdhsa_fp16_overflow 0
		.amdhsa_workgroup_processor_mode 1
		.amdhsa_memory_ordered 1
		.amdhsa_forward_progress 1
		.amdhsa_shared_vgpr_count 0
		.amdhsa_exception_fp_ieee_invalid_op 0
		.amdhsa_exception_fp_denorm_src 0
		.amdhsa_exception_fp_ieee_div_zero 0
		.amdhsa_exception_fp_ieee_overflow 0
		.amdhsa_exception_fp_ieee_underflow 0
		.amdhsa_exception_fp_ieee_inexact 0
		.amdhsa_exception_int_div_zero 0
	.end_amdhsa_kernel
	.section	.text._ZL18flash_attn_ext_vecILi256ELi1EL9ggml_type7ELS0_8ELb0EEvPKcS2_S2_S2_S2_PKiPfP15HIP_vector_typeIfLj2EEffffjfiS6_IjLj3EEiiiiiiiiiiiliiliiiiil,"axG",@progbits,_ZL18flash_attn_ext_vecILi256ELi1EL9ggml_type7ELS0_8ELb0EEvPKcS2_S2_S2_S2_PKiPfP15HIP_vector_typeIfLj2EEffffjfiS6_IjLj3EEiiiiiiiiiiiliiliiiiil,comdat
.Lfunc_end23:
	.size	_ZL18flash_attn_ext_vecILi256ELi1EL9ggml_type7ELS0_8ELb0EEvPKcS2_S2_S2_S2_PKiPfP15HIP_vector_typeIfLj2EEffffjfiS6_IjLj3EEiiiiiiiiiiiliiliiiiil, .Lfunc_end23-_ZL18flash_attn_ext_vecILi256ELi1EL9ggml_type7ELS0_8ELb0EEvPKcS2_S2_S2_S2_PKiPfP15HIP_vector_typeIfLj2EEffffjfiS6_IjLj3EEiiiiiiiiiiiliiliiiiil
                                        ; -- End function
	.set _ZL18flash_attn_ext_vecILi256ELi1EL9ggml_type7ELS0_8ELb0EEvPKcS2_S2_S2_S2_PKiPfP15HIP_vector_typeIfLj2EEffffjfiS6_IjLj3EEiiiiiiiiiiiliiliiiiil.num_vgpr, 160
	.set _ZL18flash_attn_ext_vecILi256ELi1EL9ggml_type7ELS0_8ELb0EEvPKcS2_S2_S2_S2_PKiPfP15HIP_vector_typeIfLj2EEffffjfiS6_IjLj3EEiiiiiiiiiiiliiliiiiil.num_agpr, 0
	.set _ZL18flash_attn_ext_vecILi256ELi1EL9ggml_type7ELS0_8ELb0EEvPKcS2_S2_S2_S2_PKiPfP15HIP_vector_typeIfLj2EEffffjfiS6_IjLj3EEiiiiiiiiiiiliiliiiiil.numbered_sgpr, 52
	.set _ZL18flash_attn_ext_vecILi256ELi1EL9ggml_type7ELS0_8ELb0EEvPKcS2_S2_S2_S2_PKiPfP15HIP_vector_typeIfLj2EEffffjfiS6_IjLj3EEiiiiiiiiiiiliiliiiiil.num_named_barrier, 0
	.set _ZL18flash_attn_ext_vecILi256ELi1EL9ggml_type7ELS0_8ELb0EEvPKcS2_S2_S2_S2_PKiPfP15HIP_vector_typeIfLj2EEffffjfiS6_IjLj3EEiiiiiiiiiiiliiliiiiil.private_seg_size, 0
	.set _ZL18flash_attn_ext_vecILi256ELi1EL9ggml_type7ELS0_8ELb0EEvPKcS2_S2_S2_S2_PKiPfP15HIP_vector_typeIfLj2EEffffjfiS6_IjLj3EEiiiiiiiiiiiliiliiiiil.uses_vcc, 1
	.set _ZL18flash_attn_ext_vecILi256ELi1EL9ggml_type7ELS0_8ELb0EEvPKcS2_S2_S2_S2_PKiPfP15HIP_vector_typeIfLj2EEffffjfiS6_IjLj3EEiiiiiiiiiiiliiliiiiil.uses_flat_scratch, 0
	.set _ZL18flash_attn_ext_vecILi256ELi1EL9ggml_type7ELS0_8ELb0EEvPKcS2_S2_S2_S2_PKiPfP15HIP_vector_typeIfLj2EEffffjfiS6_IjLj3EEiiiiiiiiiiiliiliiiiil.has_dyn_sized_stack, 0
	.set _ZL18flash_attn_ext_vecILi256ELi1EL9ggml_type7ELS0_8ELb0EEvPKcS2_S2_S2_S2_PKiPfP15HIP_vector_typeIfLj2EEffffjfiS6_IjLj3EEiiiiiiiiiiiliiliiiiil.has_recursion, 0
	.set _ZL18flash_attn_ext_vecILi256ELi1EL9ggml_type7ELS0_8ELb0EEvPKcS2_S2_S2_S2_PKiPfP15HIP_vector_typeIfLj2EEffffjfiS6_IjLj3EEiiiiiiiiiiiliiliiiiil.has_indirect_call, 0
	.section	.AMDGPU.csdata,"",@progbits
; Kernel info:
; codeLenInByte = 25884
; TotalNumSgprs: 54
; NumVgprs: 160
; ScratchSize: 0
; MemoryBound: 0
; FloatMode: 240
; IeeeMode: 1
; LDSByteSize: 2304 bytes/workgroup (compile time only)
; SGPRBlocks: 0
; VGPRBlocks: 19
; NumSGPRsForWavesPerEU: 54
; NumVGPRsForWavesPerEU: 160
; Occupancy: 6
; WaveLimiterHint : 0
; COMPUTE_PGM_RSRC2:SCRATCH_EN: 0
; COMPUTE_PGM_RSRC2:USER_SGPR: 6
; COMPUTE_PGM_RSRC2:TRAP_HANDLER: 0
; COMPUTE_PGM_RSRC2:TGID_X_EN: 1
; COMPUTE_PGM_RSRC2:TGID_Y_EN: 1
; COMPUTE_PGM_RSRC2:TGID_Z_EN: 1
; COMPUTE_PGM_RSRC2:TIDIG_COMP_CNT: 1
	.section	.text._ZL33flash_attn_stream_k_fixup_uniformILi256ELi1ELi1EEvPfPK15HIP_vector_typeIfLj2EEiiiiiiS1_IjLj3EES5_S5_,"axG",@progbits,_ZL33flash_attn_stream_k_fixup_uniformILi256ELi1ELi1EEvPfPK15HIP_vector_typeIfLj2EEiiiiiiS1_IjLj3EES5_S5_,comdat
	.globl	_ZL33flash_attn_stream_k_fixup_uniformILi256ELi1ELi1EEvPfPK15HIP_vector_typeIfLj2EEiiiiiiS1_IjLj3EES5_S5_ ; -- Begin function _ZL33flash_attn_stream_k_fixup_uniformILi256ELi1ELi1EEvPfPK15HIP_vector_typeIfLj2EEiiiiiiS1_IjLj3EES5_S5_
	.p2align	8
	.type	_ZL33flash_attn_stream_k_fixup_uniformILi256ELi1ELi1EEvPfPK15HIP_vector_typeIfLj2EEiiiiiiS1_IjLj3EES5_S5_,@function
_ZL33flash_attn_stream_k_fixup_uniformILi256ELi1ELi1EEvPfPK15HIP_vector_typeIfLj2EEiiiiiiS1_IjLj3EES5_S5_: ; @_ZL33flash_attn_stream_k_fixup_uniformILi256ELi1ELi1EEvPfPK15HIP_vector_typeIfLj2EEiiiiiiS1_IjLj3EES5_S5_
; %bb.0:
	s_clause 0x1
	s_load_dwordx8 s[12:19], s[4:5], 0x1c
	s_load_dwordx4 s[0:3], s[4:5], 0x3c
	s_waitcnt lgkmcnt(0)
	s_mul_hi_u32 s9, s15, s6
	s_add_i32 s9, s6, s9
	s_lshr_b32 s9, s9, s16
	s_mul_i32 s10, s9, s17
	s_sub_i32 s16, s6, s10
	s_load_dwordx2 s[10:11], s[4:5], 0x10
	s_mul_hi_u32 s15, s16, s18
	s_add_i32 s15, s16, s15
	s_lshr_b32 s15, s15, s19
	s_mul_i32 s0, s15, s0
	s_sub_i32 s0, s16, s0
	s_mul_hi_u32 s1, s0, s1
	s_add_i32 s1, s0, s1
	s_lshr_b32 s17, s1, s2
	s_mul_i32 s1, s17, s3
	s_sub_i32 s16, s0, s1
	s_add_i32 s16, s16, s7
	s_waitcnt lgkmcnt(0)
	s_cmp_lt_i32 s16, s10
	s_cselect_b32 s0, -1, 0
	s_add_i32 s17, s17, s8
	s_cmp_lt_i32 s17, s13
	s_cselect_b32 s1, -1, 0
	s_and_b32 s0, s0, s1
	s_andn2_b32 vcc_lo, exec_lo, s0
	s_cbranch_vccnz .LBB24_6
; %bb.1:
	s_mul_i32 s9, s9, s10
	s_load_dwordx4 s[0:3], s[4:5], 0x0
	s_mul_i32 s15, s15, s13
	s_add_i32 s4, s16, s9
	s_add_i32 s5, s17, s15
	s_mul_i32 s4, s4, s11
	s_add_i32 s5, s5, s4
	s_mul_i32 s4, s14, s6
	v_lshl_or_b32 v1, s5, 8, v0
	s_add_i32 s6, s7, s8
	s_add_i32 s5, s4, s14
	;; [unrolled: 1-line block ×3, first 2 shown]
	v_ashrrev_i32_e32 v2, 31, v1
	v_lshlrev_b64 v[1:2], 2, v[1:2]
	s_waitcnt lgkmcnt(0)
	v_add_co_u32 v1, vcc_lo, s0, v1
	v_add_co_ci_u32_e64 v2, null, s1, v2, vcc_lo
	s_add_i32 s0, s7, -1
	s_ashr_i32 s1, s0, 31
	global_load_dword v5, v[1:2], off
	s_lshl_b64 s[0:1], s[0:1], 3
	s_add_u32 s0, s2, s0
	s_addc_u32 s1, s3, s1
	s_add_i32 s9, s5, -2
	s_load_dword s8, s[0:1], 0x4
	s_cmp_lt_i32 s9, s4
	s_cbranch_scc1 .LBB24_4
; %bb.2:
	s_load_dword s9, s[0:1], 0x0
	v_lshl_or_b32 v0, s7, 8, v0
	s_lshl_b32 s0, s12, 2
	s_waitcnt lgkmcnt(0)
	v_mov_b32_e32 v6, s8
	s_ashr_i32 s1, s0, 31
	s_lshl_b64 s[0:1], s[0:1], 2
	v_add_nc_u32_e32 v3, 0xfffffe00, v0
	s_add_u32 s0, s2, s0
	s_addc_u32 s1, s3, s1
	s_add_i32 s5, s5, -1
	s_add_i32 s6, s6, s12
	v_mov_b32_e32 v0, s9
.LBB24_3:                               ; =>This Inner Loop Header: Depth=1
	v_ashrrev_i32_e32 v4, 31, v3
	s_add_i32 s5, s5, -1
	s_add_i32 s8, s5, s6
	s_ashr_i32 s9, s8, 31
	v_lshlrev_b64 v[7:8], 2, v[3:4]
	s_lshl_b64 s[8:9], s[8:9], 3
	v_add_nc_u32_e32 v3, 0xffffff00, v3
	s_add_u32 s8, s2, s8
	s_addc_u32 s9, s3, s9
	s_cmp_le_i32 s5, s4
	v_add_co_u32 v7, vcc_lo, s0, v7
	v_add_co_ci_u32_e64 v8, null, s1, v8, vcc_lo
	s_load_dwordx2 s[8:9], s[8:9], 0x0
	global_load_dword v4, v[7:8], off
	v_max_f32_e32 v7, v0, v0
	s_waitcnt lgkmcnt(0)
	v_max_f32_e64 v8, s8, s8
	v_max_f32_e32 v7, v7, v8
	v_sub_f32_e32 v8, s8, v7
	v_sub_f32_e32 v0, v0, v7
	v_mul_f32_e32 v9, 0x3fb8aa3b, v8
	v_mul_f32_e32 v12, 0x3fb8aa3b, v0
	v_cmp_ngt_f32_e32 vcc_lo, 0xc2ce8ed0, v8
	v_fma_f32 v10, 0x3fb8aa3b, v8, -v9
	v_rndne_f32_e32 v11, v9
	v_fma_f32 v13, 0x3fb8aa3b, v0, -v12
	v_rndne_f32_e32 v14, v12
	v_fmac_f32_e32 v10, 0x32a5705f, v8
	v_sub_f32_e32 v9, v9, v11
	v_fmac_f32_e32 v13, 0x32a5705f, v0
	v_cvt_i32_f32_e32 v11, v11
	v_add_f32_e32 v9, v9, v10
	v_sub_f32_e32 v10, v12, v14
	v_exp_f32_e32 v9, v9
	v_add_f32_e32 v10, v10, v13
	v_exp_f32_e32 v10, v10
	v_ldexp_f32 v9, v9, v11
	v_cvt_i32_f32_e32 v11, v14
	v_cndmask_b32_e32 v9, 0, v9, vcc_lo
	v_cmp_nlt_f32_e32 vcc_lo, 0x42b17218, v8
	v_ldexp_f32 v10, v10, v11
	v_mov_b32_e32 v11, v6
	v_cndmask_b32_e32 v9, 0x7f800000, v9, vcc_lo
	v_cmp_ngt_f32_e32 vcc_lo, 0xc2ce8ed0, v0
	v_cndmask_b32_e32 v10, 0, v10, vcc_lo
	v_cmp_le_f32_e32 vcc_lo, 0xc1a00000, v8
	v_cndmask_b32_e32 v8, 0, v9, vcc_lo
	v_cmp_nlt_f32_e32 vcc_lo, 0x42b17218, v0
	s_waitcnt vmcnt(1)
	v_mov_b32_e32 v9, v5
	v_cndmask_b32_e32 v5, 0x7f800000, v10, vcc_lo
	v_mul_f32_e32 v10, s9, v8
	v_cmp_le_f32_e32 vcc_lo, 0xc1a00000, v0
	v_mov_b32_e32 v0, v7
	v_mov_b32_e32 v6, v10
	v_cndmask_b32_e32 v12, 0, v5, vcc_lo
	v_fmac_f32_e32 v6, v11, v12
	s_waitcnt vmcnt(0)
	v_mul_f32_e32 v5, v4, v8
	v_fmac_f32_e32 v5, v9, v12
	s_cbranch_scc0 .LBB24_3
	s_branch .LBB24_5
.LBB24_4:
	s_waitcnt lgkmcnt(0)
	v_mov_b32_e32 v6, s8
.LBB24_5:
	s_waitcnt vmcnt(0)
	v_div_scale_f32 v0, null, v6, v6, v5
	v_rcp_f32_e32 v3, v0
	v_fma_f32 v4, -v0, v3, 1.0
	v_fmac_f32_e32 v3, v4, v3
	v_div_scale_f32 v4, vcc_lo, v5, v6, v5
	v_mul_f32_e32 v7, v4, v3
	v_fma_f32 v8, -v0, v7, v4
	v_fmac_f32_e32 v7, v8, v3
	v_fma_f32 v0, -v0, v7, v4
	v_div_fmas_f32 v0, v0, v3, v7
	v_div_fixup_f32 v0, v0, v6, v5
	global_store_dword v[1:2], v0, off
.LBB24_6:
	s_endpgm
	.section	.rodata,"a",@progbits
	.p2align	6, 0x0
	.amdhsa_kernel _ZL33flash_attn_stream_k_fixup_uniformILi256ELi1ELi1EEvPfPK15HIP_vector_typeIfLj2EEiiiiiiS1_IjLj3EES5_S5_
		.amdhsa_group_segment_fixed_size 0
		.amdhsa_private_segment_fixed_size 0
		.amdhsa_kernarg_size 76
		.amdhsa_user_sgpr_count 6
		.amdhsa_user_sgpr_private_segment_buffer 1
		.amdhsa_user_sgpr_dispatch_ptr 0
		.amdhsa_user_sgpr_queue_ptr 0
		.amdhsa_user_sgpr_kernarg_segment_ptr 1
		.amdhsa_user_sgpr_dispatch_id 0
		.amdhsa_user_sgpr_flat_scratch_init 0
		.amdhsa_user_sgpr_private_segment_size 0
		.amdhsa_wavefront_size32 1
		.amdhsa_uses_dynamic_stack 0
		.amdhsa_system_sgpr_private_segment_wavefront_offset 0
		.amdhsa_system_sgpr_workgroup_id_x 1
		.amdhsa_system_sgpr_workgroup_id_y 1
		.amdhsa_system_sgpr_workgroup_id_z 1
		.amdhsa_system_sgpr_workgroup_info 0
		.amdhsa_system_vgpr_workitem_id 0
		.amdhsa_next_free_vgpr 15
		.amdhsa_next_free_sgpr 20
		.amdhsa_reserve_vcc 1
		.amdhsa_reserve_flat_scratch 0
		.amdhsa_float_round_mode_32 0
		.amdhsa_float_round_mode_16_64 0
		.amdhsa_float_denorm_mode_32 3
		.amdhsa_float_denorm_mode_16_64 3
		.amdhsa_dx10_clamp 1
		.amdhsa_ieee_mode 1
		.amdhsa_fp16_overflow 0
		.amdhsa_workgroup_processor_mode 1
		.amdhsa_memory_ordered 1
		.amdhsa_forward_progress 1
		.amdhsa_shared_vgpr_count 0
		.amdhsa_exception_fp_ieee_invalid_op 0
		.amdhsa_exception_fp_denorm_src 0
		.amdhsa_exception_fp_ieee_div_zero 0
		.amdhsa_exception_fp_ieee_overflow 0
		.amdhsa_exception_fp_ieee_underflow 0
		.amdhsa_exception_fp_ieee_inexact 0
		.amdhsa_exception_int_div_zero 0
	.end_amdhsa_kernel
	.section	.text._ZL33flash_attn_stream_k_fixup_uniformILi256ELi1ELi1EEvPfPK15HIP_vector_typeIfLj2EEiiiiiiS1_IjLj3EES5_S5_,"axG",@progbits,_ZL33flash_attn_stream_k_fixup_uniformILi256ELi1ELi1EEvPfPK15HIP_vector_typeIfLj2EEiiiiiiS1_IjLj3EES5_S5_,comdat
.Lfunc_end24:
	.size	_ZL33flash_attn_stream_k_fixup_uniformILi256ELi1ELi1EEvPfPK15HIP_vector_typeIfLj2EEiiiiiiS1_IjLj3EES5_S5_, .Lfunc_end24-_ZL33flash_attn_stream_k_fixup_uniformILi256ELi1ELi1EEvPfPK15HIP_vector_typeIfLj2EEiiiiiiS1_IjLj3EES5_S5_
                                        ; -- End function
	.set _ZL33flash_attn_stream_k_fixup_uniformILi256ELi1ELi1EEvPfPK15HIP_vector_typeIfLj2EEiiiiiiS1_IjLj3EES5_S5_.num_vgpr, 15
	.set _ZL33flash_attn_stream_k_fixup_uniformILi256ELi1ELi1EEvPfPK15HIP_vector_typeIfLj2EEiiiiiiS1_IjLj3EES5_S5_.num_agpr, 0
	.set _ZL33flash_attn_stream_k_fixup_uniformILi256ELi1ELi1EEvPfPK15HIP_vector_typeIfLj2EEiiiiiiS1_IjLj3EES5_S5_.numbered_sgpr, 20
	.set _ZL33flash_attn_stream_k_fixup_uniformILi256ELi1ELi1EEvPfPK15HIP_vector_typeIfLj2EEiiiiiiS1_IjLj3EES5_S5_.num_named_barrier, 0
	.set _ZL33flash_attn_stream_k_fixup_uniformILi256ELi1ELi1EEvPfPK15HIP_vector_typeIfLj2EEiiiiiiS1_IjLj3EES5_S5_.private_seg_size, 0
	.set _ZL33flash_attn_stream_k_fixup_uniformILi256ELi1ELi1EEvPfPK15HIP_vector_typeIfLj2EEiiiiiiS1_IjLj3EES5_S5_.uses_vcc, 1
	.set _ZL33flash_attn_stream_k_fixup_uniformILi256ELi1ELi1EEvPfPK15HIP_vector_typeIfLj2EEiiiiiiS1_IjLj3EES5_S5_.uses_flat_scratch, 0
	.set _ZL33flash_attn_stream_k_fixup_uniformILi256ELi1ELi1EEvPfPK15HIP_vector_typeIfLj2EEiiiiiiS1_IjLj3EES5_S5_.has_dyn_sized_stack, 0
	.set _ZL33flash_attn_stream_k_fixup_uniformILi256ELi1ELi1EEvPfPK15HIP_vector_typeIfLj2EEiiiiiiS1_IjLj3EES5_S5_.has_recursion, 0
	.set _ZL33flash_attn_stream_k_fixup_uniformILi256ELi1ELi1EEvPfPK15HIP_vector_typeIfLj2EEiiiiiiS1_IjLj3EES5_S5_.has_indirect_call, 0
	.section	.AMDGPU.csdata,"",@progbits
; Kernel info:
; codeLenInByte = 776
; TotalNumSgprs: 22
; NumVgprs: 15
; ScratchSize: 0
; MemoryBound: 0
; FloatMode: 240
; IeeeMode: 1
; LDSByteSize: 0 bytes/workgroup (compile time only)
; SGPRBlocks: 0
; VGPRBlocks: 1
; NumSGPRsForWavesPerEU: 22
; NumVGPRsForWavesPerEU: 15
; Occupancy: 16
; WaveLimiterHint : 0
; COMPUTE_PGM_RSRC2:SCRATCH_EN: 0
; COMPUTE_PGM_RSRC2:USER_SGPR: 6
; COMPUTE_PGM_RSRC2:TRAP_HANDLER: 0
; COMPUTE_PGM_RSRC2:TGID_X_EN: 1
; COMPUTE_PGM_RSRC2:TGID_Y_EN: 1
; COMPUTE_PGM_RSRC2:TGID_Z_EN: 1
; COMPUTE_PGM_RSRC2:TIDIG_COMP_CNT: 0
	.section	.text._ZL33flash_attn_stream_k_fixup_generalILi256ELi1ELi1EEvPfPK15HIP_vector_typeIfLj2EEiiiiS1_IjLj3EES5_S5_S5_,"axG",@progbits,_ZL33flash_attn_stream_k_fixup_generalILi256ELi1ELi1EEvPfPK15HIP_vector_typeIfLj2EEiiiiS1_IjLj3EES5_S5_S5_,comdat
	.globl	_ZL33flash_attn_stream_k_fixup_generalILi256ELi1ELi1EEvPfPK15HIP_vector_typeIfLj2EEiiiiS1_IjLj3EES5_S5_S5_ ; -- Begin function _ZL33flash_attn_stream_k_fixup_generalILi256ELi1ELi1EEvPfPK15HIP_vector_typeIfLj2EEiiiiS1_IjLj3EES5_S5_S5_
	.p2align	8
	.type	_ZL33flash_attn_stream_k_fixup_generalILi256ELi1ELi1EEvPfPK15HIP_vector_typeIfLj2EEiiiiS1_IjLj3EES5_S5_S5_,@function
_ZL33flash_attn_stream_k_fixup_generalILi256ELi1ELi1EEvPfPK15HIP_vector_typeIfLj2EEiiiiS1_IjLj3EES5_S5_S5_: ; @_ZL33flash_attn_stream_k_fixup_generalILi256ELi1ELi1EEvPfPK15HIP_vector_typeIfLj2EEiiiiS1_IjLj3EES5_S5_S5_
; %bb.0:
	s_clause 0x1
	s_load_dwordx4 s[0:3], s[4:5], 0x10
	s_load_dword s9, s[4:5], 0x50
	s_mov_b32 s16, 0
	s_waitcnt lgkmcnt(0)
	s_mul_hi_i32 s17, s3, s6
	s_mul_i32 s18, s3, s6
	s_cmp_lg_u64 s[16:17], 0
	s_cbranch_scc0 .LBB25_21
; %bb.1:
	s_add_u32 s10, s9, 0
	s_addc_u32 s11, 0, 0
	s_xor_b64 s[10:11], s[10:11], 0
	v_cvt_f32_u32_e32 v1, s10
	v_cvt_f32_u32_e32 v2, s11
	s_sub_u32 s14, 0, s10
	s_subb_u32 s15, 0, s11
	v_fmamk_f32 v1, v2, 0x4f800000, v1
	v_rcp_f32_e32 v1, v1
	v_mul_f32_e32 v1, 0x5f7ffffc, v1
	v_mul_f32_e32 v2, 0x2f800000, v1
	v_trunc_f32_e32 v2, v2
	v_fmamk_f32 v1, v2, 0xcf800000, v1
	v_cvt_u32_f32_e32 v2, v2
	v_cvt_u32_f32_e32 v1, v1
	v_readfirstlane_b32 s12, v2
	v_readfirstlane_b32 s13, v1
	s_mul_i32 s19, s14, s12
	s_mul_hi_u32 s21, s14, s13
	s_mul_i32 s20, s15, s13
	s_add_i32 s19, s21, s19
	s_mul_i32 s22, s14, s13
	s_add_i32 s19, s19, s20
	s_mul_hi_u32 s21, s13, s22
	s_mul_i32 s24, s13, s19
	s_mul_hi_u32 s23, s12, s22
	s_mul_i32 s20, s12, s22
	s_mul_hi_u32 s22, s13, s19
	s_add_u32 s21, s21, s24
	s_addc_u32 s22, 0, s22
	s_mul_hi_u32 s25, s12, s19
	s_add_u32 s20, s21, s20
	s_mul_i32 s19, s12, s19
	s_addc_u32 s20, s22, s23
	s_addc_u32 s21, s25, 0
	s_add_u32 s19, s20, s19
	s_addc_u32 s20, 0, s21
	s_add_u32 s13, s13, s19
	s_cselect_b32 s19, -1, 0
	s_mul_hi_u32 s21, s14, s13
	s_cmp_lg_u32 s19, 0
	s_mul_i32 s19, s14, s13
	s_addc_u32 s12, s12, s20
	s_mul_i32 s15, s15, s13
	s_mul_i32 s14, s14, s12
	s_mul_hi_u32 s20, s13, s19
	s_add_i32 s14, s21, s14
	s_mul_hi_u32 s21, s12, s19
	s_add_i32 s14, s14, s15
	s_mul_i32 s15, s12, s19
	s_mul_i32 s23, s13, s14
	s_mul_hi_u32 s22, s13, s14
	s_add_u32 s20, s20, s23
	s_addc_u32 s22, 0, s22
	s_mul_hi_u32 s19, s12, s14
	s_add_u32 s15, s20, s15
	s_mul_i32 s14, s12, s14
	s_addc_u32 s15, s22, s21
	s_addc_u32 s19, s19, 0
	s_add_u32 s14, s15, s14
	s_addc_u32 s15, 0, s19
	s_add_u32 s19, s13, s14
	s_cselect_b32 s13, -1, 0
	s_cmp_lg_u32 s13, 0
	s_addc_u32 s20, s12, s15
	s_ashr_i32 s12, s17, 31
	s_add_u32 s14, s18, s12
	s_mov_b32 s13, s12
	s_addc_u32 s15, s17, s12
	s_xor_b64 s[14:15], s[14:15], s[12:13]
	s_mul_i32 s21, s14, s20
	s_mul_hi_u32 s22, s14, s19
	s_mul_hi_u32 s17, s14, s20
	;; [unrolled: 1-line block ×3, first 2 shown]
	s_mul_i32 s19, s15, s19
	s_add_u32 s21, s22, s21
	s_addc_u32 s17, 0, s17
	s_mul_hi_u32 s23, s15, s20
	s_add_u32 s19, s21, s19
	s_mul_i32 s20, s15, s20
	s_addc_u32 s17, s17, s24
	s_addc_u32 s19, s23, 0
	s_add_u32 s17, s17, s20
	s_addc_u32 s19, 0, s19
	s_mul_hi_u32 s20, s10, s17
	s_mul_i32 s21, s10, s19
	s_mul_i32 s22, s11, s17
	s_add_i32 s20, s20, s21
	s_mul_i32 s21, s10, s17
	s_add_i32 s20, s20, s22
	s_sub_i32 s22, s15, s20
	s_sub_u32 s14, s14, s21
	s_cselect_b32 s21, -1, 0
	s_cmp_lg_u32 s21, 0
	s_subb_u32 s22, s22, s11
	s_sub_u32 s23, s14, s10
	s_cselect_b32 s24, -1, 0
	s_cmp_lg_u32 s24, 0
	s_subb_u32 s22, s22, 0
	s_cmp_ge_u32 s22, s11
	s_cselect_b32 s24, -1, 0
	s_cmp_ge_u32 s23, s10
	s_cselect_b32 s23, -1, 0
	s_cmp_eq_u32 s22, s11
	s_cselect_b32 s22, s23, s24
	s_add_u32 s23, s17, 1
	s_addc_u32 s24, s19, 0
	s_add_u32 s25, s17, 2
	s_addc_u32 s26, s19, 0
	s_cmp_lg_u32 s22, 0
	s_cselect_b32 s22, s25, s23
	s_cselect_b32 s23, s26, s24
	s_cmp_lg_u32 s21, 0
	s_subb_u32 s15, s15, s20
	s_cmp_ge_u32 s15, s11
	s_cselect_b32 s20, -1, 0
	s_cmp_ge_u32 s14, s10
	s_cselect_b32 s10, -1, 0
	s_cmp_eq_u32 s15, s11
	s_cselect_b32 s10, s10, s20
	s_cmp_lg_u32 s10, 0
	s_cselect_b32 s11, s23, s19
	s_cselect_b32 s10, s22, s17
	s_xor_b64 s[12:13], s[12:13], 0
	s_xor_b64 s[10:11], s[10:11], s[12:13]
	s_sub_u32 s10, s10, s12
	s_load_dwordx4 s[12:15], s[4:5], 0x44
	s_andn2_b32 vcc_lo, exec_lo, s16
	s_cbranch_vccnz .LBB25_3
.LBB25_2:
	v_cvt_f32_u32_e32 v1, s9
	s_sub_i32 s11, 0, s9
	v_rcp_iflag_f32_e32 v1, v1
	v_mul_f32_e32 v1, 0x4f7ffffe, v1
	v_cvt_u32_f32_e32 v1, v1
	v_readfirstlane_b32 s10, v1
	s_mul_i32 s11, s11, s10
	s_mul_hi_u32 s11, s10, s11
	s_add_i32 s10, s10, s11
	s_mul_hi_u32 s10, s18, s10
	s_mul_i32 s11, s10, s9
	s_waitcnt lgkmcnt(0)
	s_add_i32 s15, s10, 1
	s_sub_i32 s11, s18, s11
	s_sub_i32 s16, s11, s9
	s_cmp_ge_u32 s11, s9
	s_cselect_b32 s10, s15, s10
	s_cselect_b32 s11, s16, s11
	s_add_i32 s15, s10, 1
	s_cmp_ge_u32 s11, s9
	s_cselect_b32 s10, s15, s10
.LBB25_3:
	s_add_i32 s11, s6, 1
	s_mov_b32 s16, 0
	s_mul_hi_i32 s17, s3, s11
	s_mul_i32 s11, s3, s11
	s_cmp_lg_u64 s[16:17], 0
	s_cbranch_scc0 .LBB25_22
; %bb.4:
	s_add_u32 s18, s9, 0
	s_addc_u32 s19, 0, 0
	s_xor_b64 s[18:19], s[18:19], 0
	v_cvt_f32_u32_e32 v1, s18
	v_cvt_f32_u32_e32 v2, s19
	s_sub_u32 s21, 0, s18
	s_subb_u32 s22, 0, s19
	v_fmamk_f32 v1, v2, 0x4f800000, v1
	v_rcp_f32_e32 v1, v1
	v_mul_f32_e32 v1, 0x5f7ffffc, v1
	v_mul_f32_e32 v2, 0x2f800000, v1
	v_trunc_f32_e32 v2, v2
	v_fmamk_f32 v1, v2, 0xcf800000, v1
	v_cvt_u32_f32_e32 v2, v2
	v_cvt_u32_f32_e32 v1, v1
	s_waitcnt lgkmcnt(0)
	v_readfirstlane_b32 s15, v2
	v_readfirstlane_b32 s20, v1
	s_mul_i32 s23, s21, s15
	s_mul_hi_u32 s25, s21, s20
	s_mul_i32 s24, s22, s20
	s_add_i32 s23, s25, s23
	s_mul_i32 s26, s21, s20
	s_add_i32 s23, s23, s24
	s_mul_hi_u32 s25, s20, s26
	s_mul_i32 s28, s20, s23
	s_mul_hi_u32 s27, s15, s26
	s_mul_i32 s24, s15, s26
	s_mul_hi_u32 s26, s20, s23
	s_add_u32 s25, s25, s28
	s_addc_u32 s26, 0, s26
	s_mul_hi_u32 s29, s15, s23
	s_add_u32 s24, s25, s24
	s_mul_i32 s23, s15, s23
	s_addc_u32 s24, s26, s27
	s_addc_u32 s25, s29, 0
	s_add_u32 s23, s24, s23
	s_addc_u32 s24, 0, s25
	s_add_u32 s20, s20, s23
	s_cselect_b32 s23, -1, 0
	s_mul_hi_u32 s25, s21, s20
	s_cmp_lg_u32 s23, 0
	s_mul_i32 s23, s21, s20
	s_addc_u32 s15, s15, s24
	s_mul_i32 s22, s22, s20
	s_mul_i32 s21, s21, s15
	s_mul_hi_u32 s24, s20, s23
	s_add_i32 s21, s25, s21
	s_mul_hi_u32 s25, s15, s23
	s_add_i32 s21, s21, s22
	s_mul_i32 s22, s15, s23
	s_mul_i32 s27, s20, s21
	s_mul_hi_u32 s26, s20, s21
	s_add_u32 s24, s24, s27
	s_addc_u32 s26, 0, s26
	s_mul_hi_u32 s23, s15, s21
	s_add_u32 s22, s24, s22
	s_mul_i32 s21, s15, s21
	s_addc_u32 s22, s26, s25
	s_addc_u32 s23, s23, 0
	s_add_u32 s21, s22, s21
	s_addc_u32 s22, 0, s23
	s_add_u32 s24, s20, s21
	s_cselect_b32 s20, -1, 0
	s_cmp_lg_u32 s20, 0
	s_addc_u32 s15, s15, s22
	s_ashr_i32 s20, s17, 31
	s_add_u32 s22, s11, s20
	s_mov_b32 s21, s20
	s_addc_u32 s23, s17, s20
	s_xor_b64 s[22:23], s[22:23], s[20:21]
	s_mul_i32 s25, s22, s15
	s_mul_hi_u32 s26, s22, s24
	s_mul_hi_u32 s17, s22, s15
	;; [unrolled: 1-line block ×3, first 2 shown]
	s_mul_i32 s24, s23, s24
	s_add_u32 s25, s26, s25
	s_addc_u32 s17, 0, s17
	s_mul_hi_u32 s27, s23, s15
	s_add_u32 s24, s25, s24
	s_mul_i32 s15, s23, s15
	s_addc_u32 s17, s17, s28
	s_addc_u32 s24, s27, 0
	s_add_u32 s15, s17, s15
	s_addc_u32 s17, 0, s24
	s_mul_hi_u32 s24, s18, s15
	s_mul_i32 s25, s18, s17
	s_mul_i32 s26, s19, s15
	s_add_i32 s24, s24, s25
	s_mul_i32 s25, s18, s15
	s_add_i32 s24, s24, s26
	s_sub_i32 s26, s23, s24
	s_sub_u32 s22, s22, s25
	s_cselect_b32 s25, -1, 0
	s_cmp_lg_u32 s25, 0
	s_subb_u32 s26, s26, s19
	s_sub_u32 s27, s22, s18
	s_cselect_b32 s28, -1, 0
	s_cmp_lg_u32 s28, 0
	s_subb_u32 s26, s26, 0
	s_cmp_ge_u32 s26, s19
	s_cselect_b32 s28, -1, 0
	s_cmp_ge_u32 s27, s18
	s_cselect_b32 s27, -1, 0
	s_cmp_eq_u32 s26, s19
	s_cselect_b32 s26, s27, s28
	s_add_u32 s27, s15, 1
	s_addc_u32 s28, s17, 0
	s_add_u32 s29, s15, 2
	s_addc_u32 s30, s17, 0
	s_cmp_lg_u32 s26, 0
	s_cselect_b32 s26, s29, s27
	s_cselect_b32 s27, s30, s28
	s_cmp_lg_u32 s25, 0
	s_subb_u32 s23, s23, s24
	s_cmp_ge_u32 s23, s19
	s_cselect_b32 s24, -1, 0
	s_cmp_ge_u32 s22, s18
	s_cselect_b32 s18, -1, 0
	s_cmp_eq_u32 s23, s19
	s_cselect_b32 s18, s18, s24
	s_cmp_lg_u32 s18, 0
	s_cselect_b32 s19, s27, s17
	s_cselect_b32 s18, s26, s15
	s_xor_b64 s[20:21], s[20:21], 0
	s_xor_b64 s[18:19], s[18:19], s[20:21]
	s_sub_u32 s18, s18, s20
	s_andn2_b32 vcc_lo, exec_lo, s16
	s_cbranch_vccnz .LBB25_6
.LBB25_5:
	v_cvt_f32_u32_e32 v1, s9
	s_sub_i32 s16, 0, s9
	v_rcp_iflag_f32_e32 v1, v1
	v_mul_f32_e32 v1, 0x4f7ffffe, v1
	v_cvt_u32_f32_e32 v1, v1
	s_waitcnt lgkmcnt(0)
	v_readfirstlane_b32 s15, v1
	s_mul_i32 s16, s16, s15
	s_mul_hi_u32 s16, s15, s16
	s_add_i32 s15, s15, s16
	s_mul_hi_u32 s15, s11, s15
	s_mul_i32 s16, s15, s9
	s_sub_i32 s11, s11, s16
	s_add_i32 s16, s15, 1
	s_sub_i32 s17, s11, s9
	s_cmp_ge_u32 s11, s9
	s_cselect_b32 s15, s16, s15
	s_cselect_b32 s11, s17, s11
	s_add_i32 s16, s15, 1
	s_cmp_ge_u32 s11, s9
	s_cselect_b32 s18, s16, s15
.LBB25_6:
	s_cmp_eq_u32 s10, s18
	s_waitcnt lgkmcnt(0)
	s_mul_hi_u32 s11, s10, s12
	s_cselect_b32 s15, -1, 0
	s_add_i32 s11, s11, s10
	s_lshr_b32 s11, s11, s13
	s_mul_i32 s16, s11, s14
	s_cmp_eq_u32 s16, s10
	s_mul_hi_u32 s16, s18, s12
	s_cselect_b32 s17, -1, 0
	s_add_i32 s16, s16, s18
	s_lshr_b32 s16, s16, s13
	s_cmp_eq_u32 s11, s16
	s_mul_i32 s16, s16, s14
	s_cselect_b32 s19, -1, 0
	s_cmp_lg_u32 s16, s18
	s_cselect_b32 s16, -1, 0
	s_or_b32 s15, s15, s17
	s_and_b32 s16, s19, s16
	s_or_b32 s15, s15, s16
	s_and_b32 vcc_lo, exec_lo, s15
	s_cbranch_vccnz .LBB25_24
; %bb.7:
	s_load_dwordx8 s[16:23], s[4:5], 0x20
	s_waitcnt lgkmcnt(0)
	s_mul_hi_u32 s15, s10, s16
	s_load_dword s16, s[4:5], 0x40
	s_add_i32 s15, s15, s10
	s_lshr_b32 s15, s15, s17
	s_mul_i32 s17, s15, s18
	s_sub_i32 s17, s10, s17
	s_mul_hi_u32 s18, s17, s19
	s_add_i32 s18, s17, s18
	s_lshr_b32 s20, s18, s20
	s_mul_i32 s18, s20, s21
	s_sub_i32 s17, s17, s18
	s_mul_hi_u32 s18, s17, s22
	s_add_i32 s18, s17, s18
	s_lshr_b32 s22, s18, s23
	s_waitcnt lgkmcnt(0)
	s_mul_i32 s16, s22, s16
	s_sub_i32 s16, s17, s16
	s_mul_hi_u32 s17, s16, s12
	s_add_i32 s16, s16, s17
	s_lshr_b32 s21, s16, s13
	s_add_i32 s21, s21, s7
	s_cmp_lt_i32 s21, s0
	s_cselect_b32 s16, -1, 0
	s_add_i32 s22, s22, s8
	s_cmp_lt_i32 s22, s2
	s_cselect_b32 s17, -1, 0
	s_and_b32 s16, s16, s17
	s_andn2_b32 vcc_lo, exec_lo, s16
	s_cbranch_vccnz .LBB25_24
; %bb.8:
	s_load_dwordx4 s[16:19], s[4:5], 0x0
	s_mov_b32 s4, 0
	s_lshl_b32 s24, s9, 2
	s_mov_b32 s25, s4
	s_add_i32 s8, s7, s8
	s_lshl_b64 s[24:25], s[24:25], 2
	s_mul_i32 s0, s15, s0
	s_mul_i32 s20, s20, s2
	v_cvt_f32_u32_e32 v3, s9
	v_rcp_iflag_f32_e32 v3, v3
	s_waitcnt lgkmcnt(0)
	s_add_u32 s2, s18, s24
	s_addc_u32 s15, s19, s25
	s_add_i32 s0, s21, s0
	s_add_i32 s5, s22, s20
	s_mul_i32 s0, s0, s1
	v_mul_f32_e32 v3, 0x4f7ffffe, v3
	s_add_i32 s5, s5, s0
	s_add_i32 s0, s8, s6
	v_lshl_or_b32 v1, s5, 8, v0
	s_ashr_i32 s1, s0, 31
	v_cvt_u32_f32_e32 v3, v3
	s_lshl_b64 s[0:1], s[0:1], 3
	v_ashrrev_i32_e32 v2, 31, v1
	s_add_u32 s0, s18, s0
	s_addc_u32 s1, s19, s1
	s_load_dwordx2 s[0:1], s[0:1], 0x0
	v_lshlrev_b64 v[1:2], 2, v[1:2]
	v_add_co_u32 v1, vcc_lo, s16, v1
	v_add_co_ci_u32_e64 v2, null, s17, v2, vcc_lo
	s_add_i32 s17, s6, -1
	s_sub_i32 s16, 0, s9
	global_load_dword v4, v[1:2], off
	s_waitcnt lgkmcnt(0)
	v_mov_b32_e32 v5, s1
	v_mov_b32_e32 v6, s0
.LBB25_9:                               ; =>This Inner Loop Header: Depth=1
	s_mul_hi_i32 s5, s17, s3
	s_mul_i32 s6, s17, s3
	s_cmp_lg_u64 s[4:5], 0
	s_mov_b32 s7, -1
                                        ; implicit-def: $sgpr0_sgpr1
	s_cbranch_scc0 .LBB25_11
; %bb.10:                               ;   in Loop: Header=BB25_9 Depth=1
	s_add_u32 s0, s9, 0
	s_addc_u32 s1, 0, 0
	s_xor_b64 s[0:1], s[0:1], 0
	v_cvt_f32_u32_e32 v7, s0
	v_cvt_f32_u32_e32 v8, s1
	s_sub_u32 s21, 0, s0
	s_subb_u32 s22, 0, s1
	v_fmac_f32_e32 v7, 0x4f800000, v8
	v_rcp_f32_e32 v7, v7
	v_mul_f32_e32 v7, 0x5f7ffffc, v7
	v_mul_f32_e32 v8, 0x2f800000, v7
	v_trunc_f32_e32 v8, v8
	v_fmac_f32_e32 v7, 0xcf800000, v8
	v_cvt_u32_f32_e32 v8, v8
	v_cvt_u32_f32_e32 v7, v7
	v_readfirstlane_b32 s7, v8
	v_readfirstlane_b32 s20, v7
	s_mul_i32 s23, s21, s7
	s_mul_hi_u32 s25, s21, s20
	s_mul_i32 s24, s22, s20
	s_add_i32 s23, s25, s23
	s_mul_i32 s26, s21, s20
	s_add_i32 s23, s23, s24
	s_mul_hi_u32 s25, s20, s26
	s_mul_i32 s28, s20, s23
	s_mul_hi_u32 s27, s7, s26
	s_mul_i32 s24, s7, s26
	s_mul_hi_u32 s26, s20, s23
	s_add_u32 s25, s25, s28
	s_addc_u32 s26, 0, s26
	s_mul_hi_u32 s29, s7, s23
	s_add_u32 s24, s25, s24
	s_mul_i32 s23, s7, s23
	s_addc_u32 s24, s26, s27
	s_addc_u32 s25, s29, 0
	s_add_u32 s23, s24, s23
	s_addc_u32 s24, 0, s25
	s_add_u32 s20, s20, s23
	s_cselect_b32 s23, -1, 0
	s_mul_hi_u32 s25, s21, s20
	s_cmp_lg_u32 s23, 0
	s_mul_i32 s23, s21, s20
	s_addc_u32 s7, s7, s24
	s_mul_i32 s22, s22, s20
	s_mul_i32 s21, s21, s7
	s_mul_hi_u32 s24, s20, s23
	s_add_i32 s21, s25, s21
	s_mul_hi_u32 s25, s7, s23
	s_add_i32 s21, s21, s22
	s_mul_i32 s22, s7, s23
	s_mul_i32 s27, s20, s21
	s_mul_hi_u32 s26, s20, s21
	s_add_u32 s24, s24, s27
	s_addc_u32 s26, 0, s26
	s_mul_hi_u32 s23, s7, s21
	s_add_u32 s22, s24, s22
	s_mul_i32 s21, s7, s21
	s_addc_u32 s22, s26, s25
	s_addc_u32 s23, s23, 0
	s_add_u32 s21, s22, s21
	s_addc_u32 s22, 0, s23
	s_add_u32 s24, s20, s21
	s_cselect_b32 s20, -1, 0
	s_cmp_lg_u32 s20, 0
	s_addc_u32 s7, s7, s22
	s_ashr_i32 s20, s5, 31
	s_add_u32 s22, s6, s20
	s_mov_b32 s21, s20
	s_addc_u32 s23, s5, s20
	s_xor_b64 s[22:23], s[22:23], s[20:21]
	s_mul_i32 s25, s22, s7
	s_mul_hi_u32 s26, s22, s24
	s_mul_hi_u32 s5, s22, s7
	;; [unrolled: 1-line block ×3, first 2 shown]
	s_mul_i32 s24, s23, s24
	s_add_u32 s25, s26, s25
	s_addc_u32 s5, 0, s5
	s_mul_hi_u32 s27, s23, s7
	s_add_u32 s24, s25, s24
	s_mul_i32 s7, s23, s7
	s_addc_u32 s5, s5, s28
	s_addc_u32 s24, s27, 0
	s_add_u32 s5, s5, s7
	s_addc_u32 s7, 0, s24
	s_mul_hi_u32 s24, s0, s5
	s_mul_i32 s25, s0, s7
	s_mul_i32 s26, s1, s5
	s_add_i32 s24, s24, s25
	s_mul_i32 s25, s0, s5
	s_add_i32 s24, s24, s26
	s_sub_i32 s26, s23, s24
	s_sub_u32 s22, s22, s25
	s_cselect_b32 s25, -1, 0
	s_cmp_lg_u32 s25, 0
	s_subb_u32 s26, s26, s1
	s_sub_u32 s27, s22, s0
	s_cselect_b32 s28, -1, 0
	s_cmp_lg_u32 s28, 0
	s_subb_u32 s26, s26, 0
	s_cmp_ge_u32 s26, s1
	s_cselect_b32 s28, -1, 0
	s_cmp_ge_u32 s27, s0
	s_cselect_b32 s27, -1, 0
	s_cmp_eq_u32 s26, s1
	s_cselect_b32 s26, s27, s28
	s_add_u32 s27, s5, 1
	s_addc_u32 s28, s7, 0
	s_add_u32 s29, s5, 2
	s_addc_u32 s30, s7, 0
	s_cmp_lg_u32 s26, 0
	s_cselect_b32 s26, s29, s27
	s_cselect_b32 s27, s30, s28
	s_cmp_lg_u32 s25, 0
	s_subb_u32 s23, s23, s24
	s_cmp_ge_u32 s23, s1
	s_cselect_b32 s24, -1, 0
	s_cmp_ge_u32 s22, s0
	s_cselect_b32 s0, -1, 0
	s_cmp_eq_u32 s23, s1
	s_cselect_b32 s0, s0, s24
	s_cmp_lg_u32 s0, 0
	s_cselect_b32 s1, s27, s7
	s_cselect_b32 s0, s26, s5
	s_xor_b64 s[20:21], s[20:21], 0
	s_mov_b32 s7, 0
	s_xor_b64 s[0:1], s[0:1], s[20:21]
	s_sub_u32 s0, s0, s20
.LBB25_11:                              ;   in Loop: Header=BB25_9 Depth=1
	s_andn2_b32 vcc_lo, exec_lo, s7
	s_cbranch_vccnz .LBB25_13
; %bb.12:                               ;   in Loop: Header=BB25_9 Depth=1
	v_readfirstlane_b32 s0, v3
	s_mul_i32 s1, s16, s0
	s_mul_hi_u32 s1, s0, s1
	s_add_i32 s0, s0, s1
	s_mul_hi_u32 s0, s6, s0
	s_mul_i32 s1, s0, s9
	s_add_i32 s5, s0, 1
	s_sub_i32 s1, s6, s1
	s_sub_i32 s6, s1, s9
	s_cmp_ge_u32 s1, s9
	s_cselect_b32 s0, s5, s0
	s_cselect_b32 s1, s6, s1
	s_add_i32 s5, s0, 1
	s_cmp_ge_u32 s1, s9
	s_cselect_b32 s0, s5, s0
.LBB25_13:                              ;   in Loop: Header=BB25_9 Depth=1
	s_cmp_lg_u32 s10, s0
	s_mov_b32 s6, -1
                                        ; implicit-def: $sgpr5
                                        ; implicit-def: $vgpr8
                                        ; implicit-def: $vgpr7
                                        ; implicit-def: $vgpr9
                                        ; implicit-def: $sgpr1
                                        ; implicit-def: $sgpr20
	s_cbranch_scc0 .LBB25_18
; %bb.14:                               ;   in Loop: Header=BB25_9 Depth=1
	s_add_i32 s21, s17, s8
	s_mov_b32 s7, s4
	s_add_i32 s6, s21, s9
	s_mul_hi_u32 s1, s0, s12
	s_lshl_b64 s[6:7], s[6:7], 3
	s_mov_b32 s20, s10
	s_add_u32 s6, s18, s6
	s_addc_u32 s7, s19, s7
	s_add_i32 s1, s1, s0
	s_lshr_b32 s1, s1, s13
	s_mul_i32 s5, s1, s14
	s_cmp_eq_u32 s5, s0
	s_cselect_b32 s5, -1, 0
	s_cmp_lt_u32 s1, s11
	s_cselect_b32 s1, -1, 0
	s_or_b32 s1, s1, s5
	s_mov_b32 s5, -1
	s_and_b32 vcc_lo, exec_lo, s1
	s_mov_b32 s1, s17
	s_cbranch_vccnz .LBB25_16
; %bb.15:                               ;   in Loop: Header=BB25_9 Depth=1
	s_add_i32 s1, s17, -1
	s_mov_b32 s5, 0
	s_mov_b32 s20, s0
.LBB25_16:                              ;   in Loop: Header=BB25_9 Depth=1
	v_lshl_or_b32 v7, s21, 8, v0
	s_load_dwordx2 s[6:7], s[6:7], 0x0
	v_ashrrev_i32_e32 v8, 31, v7
	v_lshlrev_b64 v[7:8], 2, v[7:8]
	v_add_co_u32 v7, vcc_lo, s2, v7
	v_add_co_ci_u32_e64 v8, null, s15, v8, vcc_lo
	s_waitcnt lgkmcnt(0)
	v_max_f32_e64 v9, s6, s6
	global_load_dword v8, v[7:8], off
	v_max_f32_e32 v7, v6, v6
	v_max_f32_e32 v7, v7, v9
	v_sub_f32_e32 v9, s6, v7
	v_sub_f32_e32 v10, v6, v7
	v_mul_f32_e32 v11, 0x3fb8aa3b, v9
	v_mul_f32_e32 v12, 0x3fb8aa3b, v10
	v_cmp_ngt_f32_e32 vcc_lo, 0xc2ce8ed0, v9
	v_fma_f32 v13, 0x3fb8aa3b, v9, -v11
	v_rndne_f32_e32 v14, v11
	v_fma_f32 v15, 0x3fb8aa3b, v10, -v12
	v_rndne_f32_e32 v16, v12
	v_fmac_f32_e32 v13, 0x32a5705f, v9
	v_sub_f32_e32 v11, v11, v14
	v_fmac_f32_e32 v15, 0x32a5705f, v10
	v_sub_f32_e32 v12, v12, v16
	v_add_f32_e32 v11, v11, v13
	v_cvt_i32_f32_e32 v13, v14
	v_add_f32_e32 v12, v12, v15
	v_cvt_i32_f32_e32 v14, v16
	v_exp_f32_e32 v11, v11
	v_exp_f32_e32 v12, v12
	v_ldexp_f32 v11, v11, v13
	v_ldexp_f32 v12, v12, v14
	v_cndmask_b32_e32 v11, 0, v11, vcc_lo
	v_cmp_ngt_f32_e32 vcc_lo, 0xc2ce8ed0, v10
	v_cndmask_b32_e32 v12, 0, v12, vcc_lo
	v_cmp_nlt_f32_e32 vcc_lo, 0x42b17218, v9
	v_cndmask_b32_e32 v11, 0x7f800000, v11, vcc_lo
	v_cmp_nlt_f32_e32 vcc_lo, 0x42b17218, v10
	v_cndmask_b32_e32 v12, 0x7f800000, v12, vcc_lo
	v_cmp_le_f32_e32 vcc_lo, 0xc1a00000, v9
	v_cndmask_b32_e32 v9, 0, v11, vcc_lo
	v_cmp_le_f32_e32 vcc_lo, 0xc1a00000, v10
	v_cndmask_b32_e32 v10, 0, v12, vcc_lo
	s_waitcnt vmcnt(0)
	v_mul_f32_e32 v8, v8, v9
	v_mul_f32_e32 v9, s7, v9
	v_fmac_f32_e32 v8, v4, v10
	v_fmac_f32_e32 v9, v5, v10
	s_cbranch_execz .LBB25_19
.LBB25_17:                              ;   in Loop: Header=BB25_9 Depth=1
	s_andn2_b32 vcc_lo, exec_lo, s5
	s_cbranch_vccnz .LBB25_20
	s_branch .LBB25_23
.LBB25_18:                              ;   in Loop: Header=BB25_9 Depth=1
	s_andn2_b32 vcc_lo, exec_lo, s6
	s_cbranch_vccnz .LBB25_17
.LBB25_19:                              ;   in Loop: Header=BB25_9 Depth=1
	v_mov_b32_e32 v9, v5
	v_mov_b32_e32 v7, v6
	s_waitcnt vmcnt(0)
	v_mov_b32_e32 v8, v4
	s_add_i32 s1, s17, -1
	s_mov_b32 s20, s10
	s_cbranch_execz .LBB25_23
.LBB25_20:                              ;   in Loop: Header=BB25_9 Depth=1
	v_mov_b32_e32 v5, v9
	v_mov_b32_e32 v6, v7
	s_waitcnt vmcnt(0)
	v_mov_b32_e32 v4, v8
	s_mov_b32 s10, s20
	s_mov_b32 s17, s1
	s_branch .LBB25_9
.LBB25_21:
                                        ; implicit-def: $sgpr10_sgpr11
	s_load_dwordx4 s[12:15], s[4:5], 0x44
	s_branch .LBB25_2
.LBB25_22:
                                        ; implicit-def: $sgpr18_sgpr19
	s_branch .LBB25_5
.LBB25_23:
	v_div_scale_f32 v0, null, v9, v9, v8
	v_rcp_f32_e32 v3, v0
	s_waitcnt vmcnt(0)
	v_fma_f32 v4, -v0, v3, 1.0
	v_fmac_f32_e32 v3, v4, v3
	v_div_scale_f32 v4, vcc_lo, v8, v9, v8
	v_mul_f32_e32 v5, v4, v3
	v_fma_f32 v6, -v0, v5, v4
	v_fmac_f32_e32 v5, v6, v3
	v_fma_f32 v0, -v0, v5, v4
	v_div_fmas_f32 v0, v0, v3, v5
	v_div_fixup_f32 v0, v0, v9, v8
	global_store_dword v[1:2], v0, off
.LBB25_24:
	s_endpgm
	.section	.rodata,"a",@progbits
	.p2align	6, 0x0
	.amdhsa_kernel _ZL33flash_attn_stream_k_fixup_generalILi256ELi1ELi1EEvPfPK15HIP_vector_typeIfLj2EEiiiiS1_IjLj3EES5_S5_S5_
		.amdhsa_group_segment_fixed_size 0
		.amdhsa_private_segment_fixed_size 0
		.amdhsa_kernarg_size 336
		.amdhsa_user_sgpr_count 6
		.amdhsa_user_sgpr_private_segment_buffer 1
		.amdhsa_user_sgpr_dispatch_ptr 0
		.amdhsa_user_sgpr_queue_ptr 0
		.amdhsa_user_sgpr_kernarg_segment_ptr 1
		.amdhsa_user_sgpr_dispatch_id 0
		.amdhsa_user_sgpr_flat_scratch_init 0
		.amdhsa_user_sgpr_private_segment_size 0
		.amdhsa_wavefront_size32 1
		.amdhsa_uses_dynamic_stack 0
		.amdhsa_system_sgpr_private_segment_wavefront_offset 0
		.amdhsa_system_sgpr_workgroup_id_x 1
		.amdhsa_system_sgpr_workgroup_id_y 1
		.amdhsa_system_sgpr_workgroup_id_z 1
		.amdhsa_system_sgpr_workgroup_info 0
		.amdhsa_system_vgpr_workitem_id 0
		.amdhsa_next_free_vgpr 17
		.amdhsa_next_free_sgpr 31
		.amdhsa_reserve_vcc 1
		.amdhsa_reserve_flat_scratch 0
		.amdhsa_float_round_mode_32 0
		.amdhsa_float_round_mode_16_64 0
		.amdhsa_float_denorm_mode_32 3
		.amdhsa_float_denorm_mode_16_64 3
		.amdhsa_dx10_clamp 1
		.amdhsa_ieee_mode 1
		.amdhsa_fp16_overflow 0
		.amdhsa_workgroup_processor_mode 1
		.amdhsa_memory_ordered 1
		.amdhsa_forward_progress 1
		.amdhsa_shared_vgpr_count 0
		.amdhsa_exception_fp_ieee_invalid_op 0
		.amdhsa_exception_fp_denorm_src 0
		.amdhsa_exception_fp_ieee_div_zero 0
		.amdhsa_exception_fp_ieee_overflow 0
		.amdhsa_exception_fp_ieee_underflow 0
		.amdhsa_exception_fp_ieee_inexact 0
		.amdhsa_exception_int_div_zero 0
	.end_amdhsa_kernel
	.section	.text._ZL33flash_attn_stream_k_fixup_generalILi256ELi1ELi1EEvPfPK15HIP_vector_typeIfLj2EEiiiiS1_IjLj3EES5_S5_S5_,"axG",@progbits,_ZL33flash_attn_stream_k_fixup_generalILi256ELi1ELi1EEvPfPK15HIP_vector_typeIfLj2EEiiiiS1_IjLj3EES5_S5_S5_,comdat
.Lfunc_end25:
	.size	_ZL33flash_attn_stream_k_fixup_generalILi256ELi1ELi1EEvPfPK15HIP_vector_typeIfLj2EEiiiiS1_IjLj3EES5_S5_S5_, .Lfunc_end25-_ZL33flash_attn_stream_k_fixup_generalILi256ELi1ELi1EEvPfPK15HIP_vector_typeIfLj2EEiiiiS1_IjLj3EES5_S5_S5_
                                        ; -- End function
	.set _ZL33flash_attn_stream_k_fixup_generalILi256ELi1ELi1EEvPfPK15HIP_vector_typeIfLj2EEiiiiS1_IjLj3EES5_S5_S5_.num_vgpr, 17
	.set _ZL33flash_attn_stream_k_fixup_generalILi256ELi1ELi1EEvPfPK15HIP_vector_typeIfLj2EEiiiiS1_IjLj3EES5_S5_S5_.num_agpr, 0
	.set _ZL33flash_attn_stream_k_fixup_generalILi256ELi1ELi1EEvPfPK15HIP_vector_typeIfLj2EEiiiiS1_IjLj3EES5_S5_S5_.numbered_sgpr, 31
	.set _ZL33flash_attn_stream_k_fixup_generalILi256ELi1ELi1EEvPfPK15HIP_vector_typeIfLj2EEiiiiS1_IjLj3EES5_S5_S5_.num_named_barrier, 0
	.set _ZL33flash_attn_stream_k_fixup_generalILi256ELi1ELi1EEvPfPK15HIP_vector_typeIfLj2EEiiiiS1_IjLj3EES5_S5_S5_.private_seg_size, 0
	.set _ZL33flash_attn_stream_k_fixup_generalILi256ELi1ELi1EEvPfPK15HIP_vector_typeIfLj2EEiiiiS1_IjLj3EES5_S5_S5_.uses_vcc, 1
	.set _ZL33flash_attn_stream_k_fixup_generalILi256ELi1ELi1EEvPfPK15HIP_vector_typeIfLj2EEiiiiS1_IjLj3EES5_S5_S5_.uses_flat_scratch, 0
	.set _ZL33flash_attn_stream_k_fixup_generalILi256ELi1ELi1EEvPfPK15HIP_vector_typeIfLj2EEiiiiS1_IjLj3EES5_S5_S5_.has_dyn_sized_stack, 0
	.set _ZL33flash_attn_stream_k_fixup_generalILi256ELi1ELi1EEvPfPK15HIP_vector_typeIfLj2EEiiiiS1_IjLj3EES5_S5_S5_.has_recursion, 0
	.set _ZL33flash_attn_stream_k_fixup_generalILi256ELi1ELi1EEvPfPK15HIP_vector_typeIfLj2EEiiiiS1_IjLj3EES5_S5_S5_.has_indirect_call, 0
	.section	.AMDGPU.csdata,"",@progbits
; Kernel info:
; codeLenInByte = 2900
; TotalNumSgprs: 33
; NumVgprs: 17
; ScratchSize: 0
; MemoryBound: 0
; FloatMode: 240
; IeeeMode: 1
; LDSByteSize: 0 bytes/workgroup (compile time only)
; SGPRBlocks: 0
; VGPRBlocks: 2
; NumSGPRsForWavesPerEU: 33
; NumVGPRsForWavesPerEU: 17
; Occupancy: 16
; WaveLimiterHint : 0
; COMPUTE_PGM_RSRC2:SCRATCH_EN: 0
; COMPUTE_PGM_RSRC2:USER_SGPR: 6
; COMPUTE_PGM_RSRC2:TRAP_HANDLER: 0
; COMPUTE_PGM_RSRC2:TGID_X_EN: 1
; COMPUTE_PGM_RSRC2:TGID_Y_EN: 1
; COMPUTE_PGM_RSRC2:TGID_Z_EN: 1
; COMPUTE_PGM_RSRC2:TIDIG_COMP_CNT: 0
	.section	.text._ZL26flash_attn_combine_resultsILi256EEvPKfPK15HIP_vector_typeIfLj2EEPfi,"axG",@progbits,_ZL26flash_attn_combine_resultsILi256EEvPKfPK15HIP_vector_typeIfLj2EEPfi,comdat
	.globl	_ZL26flash_attn_combine_resultsILi256EEvPKfPK15HIP_vector_typeIfLj2EEPfi ; -- Begin function _ZL26flash_attn_combine_resultsILi256EEvPKfPK15HIP_vector_typeIfLj2EEPfi
	.p2align	8
	.type	_ZL26flash_attn_combine_resultsILi256EEvPKfPK15HIP_vector_typeIfLj2EEPfi,@function
_ZL26flash_attn_combine_resultsILi256EEvPKfPK15HIP_vector_typeIfLj2EEPfi: ; @_ZL26flash_attn_combine_resultsILi256EEvPKfPK15HIP_vector_typeIfLj2EEPfi
; %bb.0:
	s_clause 0x3
	s_load_dwordx2 s[2:3], s[4:5], 0x20
	s_load_dword s9, s[4:5], 0x18
	s_load_dwordx4 s[12:15], s[4:5], 0x0
	s_load_dwordx2 s[10:11], s[4:5], 0x10
	v_lshlrev_b32_e32 v5, 2, v0
	s_mov_b32 s4, exec_lo
	s_waitcnt lgkmcnt(0)
	s_mul_i32 s0, s2, s8
	s_lshl_b32 s1, s9, 1
	s_add_i32 s0, s0, s6
	s_mul_i32 s6, s0, s3
	s_add_i32 s6, s6, s7
	s_mul_i32 s2, s6, s9
	v_cmpx_gt_i32_e64 s1, v0
	s_cbranch_execz .LBB26_3
; %bb.1:
	s_ashr_i32 s3, s2, 31
	v_add_nc_u32_e32 v3, 0, v5
	s_lshl_b64 s[16:17], s[2:3], 3
	v_mov_b32_e32 v4, v0
	s_add_u32 s0, s14, s16
	s_addc_u32 s3, s15, s17
	v_add_co_u32 v1, s0, s0, v5
	v_add_co_ci_u32_e64 v2, null, s3, 0, s0
	s_mov_b32 s3, 0
	.p2align	6
.LBB26_2:                               ; =>This Inner Loop Header: Depth=1
	global_load_dword v6, v[1:2], off
	v_add_nc_u32_e32 v4, 0x100, v4
	v_add_co_u32 v1, vcc_lo, 0x400, v1
	v_add_co_ci_u32_e64 v2, null, 0, v2, vcc_lo
	v_cmp_le_i32_e64 s0, s1, v4
	s_or_b32 s3, s0, s3
	s_waitcnt vmcnt(0)
	ds_write_b32 v3, v6
	v_add_nc_u32_e32 v3, 0x400, v3
	s_andn2_b32 exec_lo, exec_lo, s3
	s_cbranch_execnz .LBB26_2
.LBB26_3:
	s_or_b32 exec_lo, exec_lo, s4
	v_mov_b32_e32 v1, 0
	s_waitcnt lgkmcnt(0)
	s_barrier
	buffer_gl0_inv
	s_cmp_lt_i32 s9, 2
	ds_read_b32 v6, v1
	s_cbranch_scc1 .LBB26_11
; %bb.4:
	s_add_i32 s1, s9, -2
	s_add_i32 s0, s9, -1
	s_cmp_lt_u32 s1, 7
	s_cbranch_scc1 .LBB26_8
; %bb.5:
	s_mov_b32 s3, 0
	s_add_i32 s1, 0, 8
	s_and_b32 s4, s0, -8
	.p2align	6
.LBB26_6:                               ; =>This Inner Loop Header: Depth=1
	v_mov_b32_e32 v9, s1
	s_mov_b32 s5, s3
	s_add_i32 s3, s3, 8
	s_add_i32 s1, s1, 64
	s_cmp_eq_u32 s4, s3
	ds_read2_b32 v[1:2], v9 offset1:2
	ds_read2_b32 v[3:4], v9 offset0:4 offset1:6
	ds_read2_b32 v[7:8], v9 offset0:8 offset1:10
	;; [unrolled: 1-line block ×3, first 2 shown]
	s_waitcnt lgkmcnt(3)
	v_max3_f32 v1, v6, v1, v2
	s_waitcnt lgkmcnt(2)
	v_max3_f32 v1, v1, v3, v4
	;; [unrolled: 2-line block ×4, first 2 shown]
	s_cbranch_scc0 .LBB26_6
; %bb.7:
	s_add_i32 s1, s5, 9
	s_and_b32 s0, s0, 7
	s_cmp_eq_u32 s0, 0
	s_cbranch_scc0 .LBB26_9
	s_branch .LBB26_11
.LBB26_8:
	s_mov_b32 s1, 1
	s_and_b32 s0, s0, 7
	s_cmp_eq_u32 s0, 0
	s_cbranch_scc1 .LBB26_11
.LBB26_9:
	s_lshl_b32 s1, s1, 3
	s_add_i32 s1, s1, 0
.LBB26_10:                              ; =>This Inner Loop Header: Depth=1
	v_mov_b32_e32 v1, s1
	s_waitcnt lgkmcnt(0)
	v_max_f32_e32 v2, v6, v6
	s_add_i32 s0, s0, -1
	s_add_i32 s1, s1, 8
	s_cmp_lg_u32 s0, 0
	ds_read_b32 v1, v1
	s_waitcnt lgkmcnt(0)
	v_max_f32_e32 v1, v1, v1
	v_max_f32_e32 v6, v2, v1
	s_cbranch_scc1 .LBB26_10
.LBB26_11:
	s_cmp_lt_i32 s9, 1
	s_cbranch_scc1 .LBB26_16
; %bb.12:
	s_lshl_b32 s0, s2, 8
	s_ashr_i32 s1, s0, 31
	s_lshl_b64 s[0:1], s[0:1], 2
	s_add_u32 s7, s12, s0
	s_addc_u32 s8, s13, s1
	s_cmp_lt_u32 s9, 8
	s_cbranch_scc1 .LBB26_17
; %bb.13:
	v_or_b32_e32 v1, 0x700, v0
	v_mov_b32_e32 v4, 0
	v_mov_b32_e32 v7, 0
	;; [unrolled: 1-line block ×3, first 2 shown]
	s_and_b32 s12, s9, 0x7ffffff8
	s_mov_b32 s13, 0
	s_mov_b32 s14, 0
.LBB26_14:                              ; =>This Inner Loop Header: Depth=1
	v_add_nc_u32_e32 v3, 0xfffff900, v1
	v_mov_b32_e32 v2, v4
	v_mov_b32_e32 v21, s14
	s_add_i32 s13, s13, 8
	s_add_i32 s14, s14, 64
	v_lshlrev_b64 v[9:10], 2, v[3:4]
	v_add_nc_u32_e32 v3, 0xfffffa00, v1
	v_lshlrev_b64 v[11:12], 2, v[1:2]
	s_cmp_eq_u32 s12, s13
	v_lshlrev_b64 v[13:14], 2, v[3:4]
	v_add_nc_u32_e32 v3, 0xfffffb00, v1
	v_add_co_u32 v9, vcc_lo, s7, v9
	v_add_co_ci_u32_e64 v10, null, s8, v10, vcc_lo
	v_add_co_u32 v13, vcc_lo, s7, v13
	v_lshlrev_b64 v[15:16], 2, v[3:4]
	v_add_nc_u32_e32 v3, 0xfffffc00, v1
	v_add_co_ci_u32_e64 v14, null, s8, v14, vcc_lo
	s_clause 0x1
	global_load_dword v25, v[9:10], off
	global_load_dword v26, v[13:14], off
	v_lshlrev_b64 v[9:10], 2, v[3:4]
	v_add_nc_u32_e32 v3, 0xfffffd00, v1
	v_add_co_u32 v13, vcc_lo, s7, v15
	v_add_co_ci_u32_e64 v14, null, s8, v16, vcc_lo
	v_add_co_u32 v9, vcc_lo, s7, v9
	v_lshlrev_b64 v[15:16], 2, v[3:4]
	v_add_nc_u32_e32 v3, 0xfffffe00, v1
	v_add_co_ci_u32_e64 v10, null, s8, v10, vcc_lo
	s_clause 0x1
	global_load_dword v27, v[13:14], off
	global_load_dword v28, v[9:10], off
	v_lshlrev_b64 v[13:14], 2, v[3:4]
	v_add_nc_u32_e32 v3, 0xffffff00, v1
	v_add_co_u32 v9, vcc_lo, s7, v15
	v_add_co_ci_u32_e64 v10, null, s8, v16, vcc_lo
	v_add_co_u32 v13, vcc_lo, s7, v13
	v_lshlrev_b64 v[2:3], 2, v[3:4]
	v_add_co_ci_u32_e64 v14, null, s8, v14, vcc_lo
	s_clause 0x1
	global_load_dword v29, v[9:10], off
	global_load_dword v30, v[13:14], off
	v_add_co_u32 v2, vcc_lo, s7, v2
	v_add_co_ci_u32_e64 v3, null, s8, v3, vcc_lo
	v_add_co_u32 v9, vcc_lo, s7, v11
	v_add_co_ci_u32_e64 v10, null, s8, v12, vcc_lo
	s_clause 0x1
	global_load_dword v2, v[2:3], off
	global_load_dword v3, v[9:10], off
	ds_read2_b64 v[9:12], v21 offset1:1
	ds_read2_b64 v[13:16], v21 offset0:2 offset1:3
	ds_read2_b64 v[17:20], v21 offset0:4 offset1:5
	;; [unrolled: 1-line block ×3, first 2 shown]
	v_add_nc_u32_e32 v1, 0x800, v1
	s_waitcnt lgkmcnt(3)
	v_sub_f32_e32 v9, v9, v6
	v_sub_f32_e32 v11, v11, v6
	s_waitcnt lgkmcnt(2)
	v_sub_f32_e32 v13, v13, v6
	v_sub_f32_e32 v15, v15, v6
	s_waitcnt lgkmcnt(1)
	v_sub_f32_e32 v17, v17, v6
	v_mul_f32_e32 v31, 0x3fb8aa3b, v9
	v_mul_f32_e32 v32, 0x3fb8aa3b, v11
	;; [unrolled: 1-line block ×4, first 2 shown]
	v_sub_f32_e32 v19, v19, v6
	v_fma_f32 v39, 0x3fb8aa3b, v9, -v31
	v_rndne_f32_e32 v40, v31
	v_fma_f32 v41, 0x3fb8aa3b, v11, -v32
	v_rndne_f32_e32 v42, v32
	v_fma_f32 v43, 0x3fb8aa3b, v13, -v33
	v_fmac_f32_e32 v39, 0x32a5705f, v9
	v_sub_f32_e32 v31, v31, v40
	v_rndne_f32_e32 v44, v33
	v_fmac_f32_e32 v41, 0x32a5705f, v11
	v_sub_f32_e32 v32, v32, v42
	v_fmac_f32_e32 v43, 0x32a5705f, v13
	v_add_f32_e32 v31, v31, v39
	v_sub_f32_e32 v33, v33, v44
	v_mul_f32_e32 v35, 0x3fb8aa3b, v17
	v_add_f32_e32 v32, v32, v41
	v_fma_f32 v45, 0x3fb8aa3b, v15, -v34
	v_exp_f32_e32 v31, v31
	v_rndne_f32_e32 v46, v34
	v_add_f32_e32 v33, v33, v43
	v_cvt_i32_f32_e32 v40, v40
	v_exp_f32_e32 v32, v32
	s_waitcnt lgkmcnt(0)
	v_sub_f32_e32 v21, v21, v6
	v_mul_f32_e32 v36, 0x3fb8aa3b, v19
	v_fma_f32 v47, 0x3fb8aa3b, v17, -v35
	v_rndne_f32_e32 v48, v35
	v_cvt_i32_f32_e32 v42, v42
	v_fmac_f32_e32 v45, 0x32a5705f, v15
	v_sub_f32_e32 v34, v34, v46
	v_exp_f32_e32 v33, v33
	v_ldexp_f32 v31, v31, v40
	v_cmp_ngt_f32_e64 s5, 0xc2ce8ed0, v9
	v_sub_f32_e32 v23, v23, v6
	v_mul_f32_e32 v37, 0x3fb8aa3b, v21
	v_fma_f32 v49, 0x3fb8aa3b, v19, -v36
	v_rndne_f32_e32 v50, v36
	v_cvt_i32_f32_e32 v44, v44
	v_fmac_f32_e32 v47, 0x32a5705f, v17
	v_sub_f32_e32 v35, v35, v48
	v_add_f32_e32 v34, v34, v45
	v_ldexp_f32 v32, v32, v42
	v_cndmask_b32_e64 v31, 0, v31, s5
	v_cmp_ngt_f32_e64 s5, 0xc2ce8ed0, v11
	v_mul_f32_e32 v38, 0x3fb8aa3b, v23
	v_fma_f32 v51, 0x3fb8aa3b, v21, -v37
	v_rndne_f32_e32 v39, v37
	v_fmac_f32_e32 v49, 0x32a5705f, v19
	v_sub_f32_e32 v36, v36, v50
	v_add_f32_e32 v35, v35, v47
	v_exp_f32_e32 v34, v34
	v_ldexp_f32 v33, v33, v44
	v_cmp_ngt_f32_e32 vcc_lo, 0xc2ce8ed0, v13
	v_cndmask_b32_e64 v32, 0, v32, s5
	v_cmp_nlt_f32_e64 s5, 0x42b17218, v9
	v_fma_f32 v41, 0x3fb8aa3b, v23, -v38
	v_rndne_f32_e32 v43, v38
	v_cvt_i32_f32_e32 v46, v46
	v_fmac_f32_e32 v51, 0x32a5705f, v21
	v_sub_f32_e32 v37, v37, v39
	v_add_f32_e32 v36, v36, v49
	v_exp_f32_e32 v35, v35
	v_cndmask_b32_e64 v9, 0x7f800000, v31, s5
	v_cndmask_b32_e32 v31, 0, v33, vcc_lo
	v_cmp_nlt_f32_e32 vcc_lo, 0x42b17218, v11
	v_cvt_i32_f32_e32 v48, v48
	v_fmac_f32_e32 v41, 0x32a5705f, v23
	v_sub_f32_e32 v38, v38, v43
	v_add_f32_e32 v37, v37, v51
	v_exp_f32_e32 v36, v36
	v_ldexp_f32 v34, v34, v46
	v_cmp_ngt_f32_e64 s0, 0xc2ce8ed0, v15
	v_cndmask_b32_e32 v11, 0x7f800000, v32, vcc_lo
	v_fmac_f32_e32 v8, v9, v10
	v_cmp_nlt_f32_e32 vcc_lo, 0x42b17218, v13
	v_cvt_i32_f32_e32 v50, v50
	v_add_f32_e32 v38, v38, v41
	v_exp_f32_e32 v37, v37
	v_ldexp_f32 v35, v35, v48
	v_cmp_ngt_f32_e64 s1, 0xc2ce8ed0, v17
	v_cndmask_b32_e32 v10, 0x7f800000, v31, vcc_lo
	v_fmac_f32_e32 v8, v11, v12
	v_cmp_nlt_f32_e32 vcc_lo, 0x42b17218, v15
	v_cvt_i32_f32_e32 v39, v39
	v_exp_f32_e32 v38, v38
	v_ldexp_f32 v36, v36, v50
	v_cmp_ngt_f32_e64 s2, 0xc2ce8ed0, v19
	v_fmac_f32_e32 v8, v10, v14
	v_cvt_i32_f32_e32 v43, v43
	v_ldexp_f32 v37, v37, v39
	v_cmp_ngt_f32_e64 s3, 0xc2ce8ed0, v21
	v_cmp_ngt_f32_e64 s4, 0xc2ce8ed0, v23
	v_ldexp_f32 v38, v38, v43
	s_waitcnt vmcnt(7)
	v_fmac_f32_e32 v7, v25, v9
	v_cndmask_b32_e64 v9, 0, v34, s0
	s_waitcnt vmcnt(6)
	v_fmac_f32_e32 v7, v26, v11
	v_cndmask_b32_e64 v11, 0, v35, s1
	v_cndmask_b32_e32 v9, 0x7f800000, v9, vcc_lo
	v_cmp_nlt_f32_e32 vcc_lo, 0x42b17218, v17
	v_fmac_f32_e32 v8, v9, v16
	v_cndmask_b32_e32 v11, 0x7f800000, v11, vcc_lo
	v_cmp_nlt_f32_e32 vcc_lo, 0x42b17218, v19
	s_waitcnt vmcnt(5)
	v_fmac_f32_e32 v7, v27, v10
	v_cndmask_b32_e64 v10, 0, v36, s2
	v_fmac_f32_e32 v8, v11, v18
	s_waitcnt vmcnt(4)
	v_fmac_f32_e32 v7, v28, v9
	v_cndmask_b32_e64 v9, 0, v37, s3
	v_cndmask_b32_e32 v10, 0x7f800000, v10, vcc_lo
	v_cmp_nlt_f32_e32 vcc_lo, 0x42b17218, v21
	v_fmac_f32_e32 v8, v10, v20
	v_cndmask_b32_e32 v9, 0x7f800000, v9, vcc_lo
	v_cmp_nlt_f32_e32 vcc_lo, 0x42b17218, v23
	s_waitcnt vmcnt(3)
	v_fmac_f32_e32 v7, v29, v11
	v_cndmask_b32_e64 v11, 0, v38, s4
	v_fmac_f32_e32 v8, v9, v22
	s_waitcnt vmcnt(2)
	v_fmac_f32_e32 v7, v30, v10
	v_cndmask_b32_e32 v10, 0x7f800000, v11, vcc_lo
	s_waitcnt vmcnt(1)
	v_fmac_f32_e32 v7, v2, v9
	v_fmac_f32_e32 v8, v10, v24
	s_waitcnt vmcnt(0)
	v_fmac_f32_e32 v7, v3, v10
	s_cbranch_scc0 .LBB26_14
; %bb.15:
	s_and_b32 s0, s9, 7
	s_cmp_eq_u32 s0, 0
	s_cbranch_scc0 .LBB26_18
	s_branch .LBB26_20
.LBB26_16:
	v_mov_b32_e32 v0, 0x7fc00000
	s_branch .LBB26_21
.LBB26_17:
	v_mov_b32_e32 v7, 0
	v_mov_b32_e32 v8, 0
	s_mov_b32 s12, 0
	s_and_b32 s0, s9, 7
	s_cmp_eq_u32 s0, 0
	s_cbranch_scc1 .LBB26_20
.LBB26_18:
	v_lshl_or_b32 v0, s12, 8, v0
	v_mov_b32_e32 v1, 0
	s_lshl_b32 s1, s12, 3
	s_add_i32 s1, s1, 0
	s_inst_prefetch 0x1
	.p2align	6
.LBB26_19:                              ; =>This Inner Loop Header: Depth=1
	v_lshlrev_b64 v[2:3], 2, v[0:1]
	v_add_nc_u32_e32 v0, 0x100, v0
	s_add_i32 s0, s0, -1
	v_add_co_u32 v2, vcc_lo, s7, v2
	v_add_co_ci_u32_e64 v3, null, s8, v3, vcc_lo
	global_load_dword v4, v[2:3], off
	v_mov_b32_e32 v2, s1
	s_add_i32 s1, s1, 8
	s_cmp_lg_u32 s0, 0
	ds_read_b64 v[2:3], v2
	s_waitcnt lgkmcnt(0)
	v_sub_f32_e32 v2, v2, v6
	v_mul_f32_e32 v9, 0x3fb8aa3b, v2
	v_cmp_ngt_f32_e32 vcc_lo, 0xc2ce8ed0, v2
	v_fma_f32 v10, 0x3fb8aa3b, v2, -v9
	v_rndne_f32_e32 v11, v9
	v_fmac_f32_e32 v10, 0x32a5705f, v2
	v_sub_f32_e32 v9, v9, v11
	v_add_f32_e32 v9, v9, v10
	v_cvt_i32_f32_e32 v10, v11
	v_exp_f32_e32 v9, v9
	v_ldexp_f32 v9, v9, v10
	v_cndmask_b32_e32 v9, 0, v9, vcc_lo
	v_cmp_nlt_f32_e32 vcc_lo, 0x42b17218, v2
	v_cndmask_b32_e32 v2, 0x7f800000, v9, vcc_lo
	v_fmac_f32_e32 v8, v2, v3
	s_waitcnt vmcnt(0)
	v_fmac_f32_e32 v7, v4, v2
	s_cbranch_scc1 .LBB26_19
.LBB26_20:
	s_inst_prefetch 0x2
	v_div_scale_f32 v0, null, v8, v8, v7
	v_rcp_f32_e32 v1, v0
	v_fma_f32 v2, -v0, v1, 1.0
	v_fmac_f32_e32 v1, v2, v1
	v_div_scale_f32 v2, vcc_lo, v7, v8, v7
	v_mul_f32_e32 v3, v2, v1
	v_fma_f32 v4, -v0, v3, v2
	v_fmac_f32_e32 v3, v4, v1
	v_fma_f32 v0, -v0, v3, v2
	v_div_fmas_f32 v0, v0, v1, v3
	v_div_fixup_f32 v0, v0, v8, v7
.LBB26_21:
	s_lshl_b32 s0, s6, 8
	s_ashr_i32 s1, s0, 31
	s_lshl_b64 s[0:1], s[0:1], 2
	s_add_u32 s0, s10, s0
	s_addc_u32 s1, s11, s1
	global_store_dword v5, v0, s[0:1]
	s_endpgm
	.section	.rodata,"a",@progbits
	.p2align	6, 0x0
	.amdhsa_kernel _ZL26flash_attn_combine_resultsILi256EEvPKfPK15HIP_vector_typeIfLj2EEPfi
		.amdhsa_group_segment_fixed_size 0
		.amdhsa_private_segment_fixed_size 0
		.amdhsa_kernarg_size 288
		.amdhsa_user_sgpr_count 6
		.amdhsa_user_sgpr_private_segment_buffer 1
		.amdhsa_user_sgpr_dispatch_ptr 0
		.amdhsa_user_sgpr_queue_ptr 0
		.amdhsa_user_sgpr_kernarg_segment_ptr 1
		.amdhsa_user_sgpr_dispatch_id 0
		.amdhsa_user_sgpr_flat_scratch_init 0
		.amdhsa_user_sgpr_private_segment_size 0
		.amdhsa_wavefront_size32 1
		.amdhsa_uses_dynamic_stack 0
		.amdhsa_system_sgpr_private_segment_wavefront_offset 0
		.amdhsa_system_sgpr_workgroup_id_x 1
		.amdhsa_system_sgpr_workgroup_id_y 1
		.amdhsa_system_sgpr_workgroup_id_z 1
		.amdhsa_system_sgpr_workgroup_info 0
		.amdhsa_system_vgpr_workitem_id 0
		.amdhsa_next_free_vgpr 52
		.amdhsa_next_free_sgpr 18
		.amdhsa_reserve_vcc 1
		.amdhsa_reserve_flat_scratch 0
		.amdhsa_float_round_mode_32 0
		.amdhsa_float_round_mode_16_64 0
		.amdhsa_float_denorm_mode_32 3
		.amdhsa_float_denorm_mode_16_64 3
		.amdhsa_dx10_clamp 1
		.amdhsa_ieee_mode 1
		.amdhsa_fp16_overflow 0
		.amdhsa_workgroup_processor_mode 1
		.amdhsa_memory_ordered 1
		.amdhsa_forward_progress 1
		.amdhsa_shared_vgpr_count 0
		.amdhsa_exception_fp_ieee_invalid_op 0
		.amdhsa_exception_fp_denorm_src 0
		.amdhsa_exception_fp_ieee_div_zero 0
		.amdhsa_exception_fp_ieee_overflow 0
		.amdhsa_exception_fp_ieee_underflow 0
		.amdhsa_exception_fp_ieee_inexact 0
		.amdhsa_exception_int_div_zero 0
	.end_amdhsa_kernel
	.section	.text._ZL26flash_attn_combine_resultsILi256EEvPKfPK15HIP_vector_typeIfLj2EEPfi,"axG",@progbits,_ZL26flash_attn_combine_resultsILi256EEvPKfPK15HIP_vector_typeIfLj2EEPfi,comdat
.Lfunc_end26:
	.size	_ZL26flash_attn_combine_resultsILi256EEvPKfPK15HIP_vector_typeIfLj2EEPfi, .Lfunc_end26-_ZL26flash_attn_combine_resultsILi256EEvPKfPK15HIP_vector_typeIfLj2EEPfi
                                        ; -- End function
	.set _ZL26flash_attn_combine_resultsILi256EEvPKfPK15HIP_vector_typeIfLj2EEPfi.num_vgpr, 52
	.set _ZL26flash_attn_combine_resultsILi256EEvPKfPK15HIP_vector_typeIfLj2EEPfi.num_agpr, 0
	.set _ZL26flash_attn_combine_resultsILi256EEvPKfPK15HIP_vector_typeIfLj2EEPfi.numbered_sgpr, 18
	.set _ZL26flash_attn_combine_resultsILi256EEvPKfPK15HIP_vector_typeIfLj2EEPfi.num_named_barrier, 0
	.set _ZL26flash_attn_combine_resultsILi256EEvPKfPK15HIP_vector_typeIfLj2EEPfi.private_seg_size, 0
	.set _ZL26flash_attn_combine_resultsILi256EEvPKfPK15HIP_vector_typeIfLj2EEPfi.uses_vcc, 1
	.set _ZL26flash_attn_combine_resultsILi256EEvPKfPK15HIP_vector_typeIfLj2EEPfi.uses_flat_scratch, 0
	.set _ZL26flash_attn_combine_resultsILi256EEvPKfPK15HIP_vector_typeIfLj2EEPfi.has_dyn_sized_stack, 0
	.set _ZL26flash_attn_combine_resultsILi256EEvPKfPK15HIP_vector_typeIfLj2EEPfi.has_recursion, 0
	.set _ZL26flash_attn_combine_resultsILi256EEvPKfPK15HIP_vector_typeIfLj2EEPfi.has_indirect_call, 0
	.section	.AMDGPU.csdata,"",@progbits
; Kernel info:
; codeLenInByte = 2264
; TotalNumSgprs: 20
; NumVgprs: 52
; ScratchSize: 0
; MemoryBound: 0
; FloatMode: 240
; IeeeMode: 1
; LDSByteSize: 0 bytes/workgroup (compile time only)
; SGPRBlocks: 0
; VGPRBlocks: 6
; NumSGPRsForWavesPerEU: 20
; NumVGPRsForWavesPerEU: 52
; Occupancy: 16
; WaveLimiterHint : 0
; COMPUTE_PGM_RSRC2:SCRATCH_EN: 0
; COMPUTE_PGM_RSRC2:USER_SGPR: 6
; COMPUTE_PGM_RSRC2:TRAP_HANDLER: 0
; COMPUTE_PGM_RSRC2:TGID_X_EN: 1
; COMPUTE_PGM_RSRC2:TGID_Y_EN: 1
; COMPUTE_PGM_RSRC2:TGID_Z_EN: 1
; COMPUTE_PGM_RSRC2:TIDIG_COMP_CNT: 0
	.section	.text._ZL18flash_attn_ext_vecILi256ELi1EL9ggml_type7ELS0_8ELb1EEvPKcS2_S2_S2_S2_PKiPfP15HIP_vector_typeIfLj2EEffffjfiS6_IjLj3EEiiiiiiiiiiiliiliiiiil,"axG",@progbits,_ZL18flash_attn_ext_vecILi256ELi1EL9ggml_type7ELS0_8ELb1EEvPKcS2_S2_S2_S2_PKiPfP15HIP_vector_typeIfLj2EEffffjfiS6_IjLj3EEiiiiiiiiiiiliiliiiiil,comdat
	.globl	_ZL18flash_attn_ext_vecILi256ELi1EL9ggml_type7ELS0_8ELb1EEvPKcS2_S2_S2_S2_PKiPfP15HIP_vector_typeIfLj2EEffffjfiS6_IjLj3EEiiiiiiiiiiiliiliiiiil ; -- Begin function _ZL18flash_attn_ext_vecILi256ELi1EL9ggml_type7ELS0_8ELb1EEvPKcS2_S2_S2_S2_PKiPfP15HIP_vector_typeIfLj2EEffffjfiS6_IjLj3EEiiiiiiiiiiiliiliiiiil
	.p2align	8
	.type	_ZL18flash_attn_ext_vecILi256ELi1EL9ggml_type7ELS0_8ELb1EEvPKcS2_S2_S2_S2_PKiPfP15HIP_vector_typeIfLj2EEffffjfiS6_IjLj3EEiiiiiiiiiiiliiliiiiil,@function
_ZL18flash_attn_ext_vecILi256ELi1EL9ggml_type7ELS0_8ELb1EEvPKcS2_S2_S2_S2_PKiPfP15HIP_vector_typeIfLj2EEffffjfiS6_IjLj3EEiiiiiiiiiiiliiliiiiil: ; @_ZL18flash_attn_ext_vecILi256ELi1EL9ggml_type7ELS0_8ELb1EEvPKcS2_S2_S2_S2_PKiPfP15HIP_vector_typeIfLj2EEffffjfiS6_IjLj3EEiiiiiiiiiiiliiliiiiil
; %bb.0:
	s_clause 0x4
	s_load_dwordx2 s[28:29], s[4:5], 0x64
	s_load_dwordx2 s[34:35], s[4:5], 0x80
	;; [unrolled: 1-line block ×3, first 2 shown]
	s_load_dwordx4 s[24:27], s[4:5], 0x40
	s_load_dwordx2 s[36:37], s[4:5], 0x50
	v_mov_b32_e32 v67, 1.0
	s_waitcnt lgkmcnt(0)
	v_cvt_f32_u32_e32 v2, s29
	s_sub_i32 s1, 0, s29
	v_rcp_iflag_f32_e32 v2, v2
	v_mul_f32_e32 v2, 0x4f7ffffe, v2
	v_cvt_u32_f32_e32 v2, v2
	v_readfirstlane_b32 s0, v2
	s_mul_i32 s1, s1, s0
	s_mul_hi_u32 s1, s0, s1
	s_add_i32 s0, s0, s1
	s_mul_hi_u32 s0, s8, s0
	s_mul_i32 s1, s0, s29
	s_add_i32 s2, s0, 1
	s_sub_i32 s1, s8, s1
	s_sub_i32 s3, s1, s29
	s_cmp_ge_u32 s1, s29
	s_cselect_b32 s0, s2, s0
	s_cselect_b32 s1, s3, s1
	s_add_i32 s2, s0, 1
	s_cmp_ge_u32 s1, s29
	s_cselect_b32 s33, s2, s0
	s_abs_i32 s0, s35
	s_abs_i32 s9, s29
	v_cvt_f32_u32_e32 v2, s0
	s_sub_i32 s2, 0, s0
	s_xor_b32 s3, s29, s35
	s_ashr_i32 s3, s3, 31
	v_rcp_iflag_f32_e32 v2, v2
	v_mul_f32_e32 v2, 0x4f7ffffe, v2
	v_cvt_u32_f32_e32 v2, v2
	v_readfirstlane_b32 s1, v2
	s_mul_i32 s2, s2, s1
	s_mul_hi_u32 s2, s1, s2
	s_add_i32 s1, s1, s2
	s_mul_i32 s2, s33, s29
	s_mul_hi_u32 s1, s9, s1
	s_sub_i32 s30, s8, s2
	s_mul_i32 s10, s1, s0
	s_add_i32 s8, s1, 1
	s_sub_i32 s2, s9, s10
	s_sub_i32 s9, s2, s0
	s_cmp_ge_u32 s2, s0
	s_cselect_b32 s1, s8, s1
	s_cselect_b32 s2, s9, s2
	s_add_i32 s8, s1, 1
	s_cmp_ge_u32 s2, s0
	s_cselect_b32 s0, s8, s1
	s_abs_i32 s35, s38
	s_xor_b32 s0, s0, s3
	v_cvt_f32_u32_e32 v2, s35
	s_sub_i32 s40, s0, s3
	v_cmp_le_f32_e64 s0, s25, 0
	s_abs_i32 s43, s40
	s_abs_i32 s44, s30
	v_cvt_f32_u32_e32 v3, s43
	v_rcp_iflag_f32_e32 v2, v2
	s_and_b32 vcc_lo, exec_lo, s0
	s_sub_i32 s0, 0, s35
	s_sub_i32 s1, 0, s43
	v_rcp_iflag_f32_e32 v3, v3
	s_abs_i32 s42, s33
	v_mul_f32_e32 v2, 0x4f7ffffe, v2
	v_mul_f32_e32 v3, 0x4f7ffffe, v3
	v_cvt_u32_f32_e32 v2, v2
	v_cvt_u32_f32_e32 v3, v3
	v_readfirstlane_b32 s3, v2
	v_readfirstlane_b32 s25, v3
	s_mul_i32 s0, s0, s3
	s_mul_hi_u32 s0, s3, s0
	s_mul_i32 s1, s1, s25
	s_add_i32 s3, s3, s0
	s_mul_hi_u32 s1, s25, s1
	s_add_i32 s25, s25, s1
	s_cbranch_vccnz .LBB27_2
; %bb.1:
	v_sub_co_u32 v3, vcc_lo, s30, s36
	v_mov_b32_e32 v2, s26
	s_add_i32 s0, s30, 1
	v_lshlrev_b32_e32 v3, 1, v3
	v_cndmask_b32_e32 v2, s27, v2, vcc_lo
	v_or_b32_e32 v3, 1, v3
	v_cndmask_b32_e64 v3, v3, s0, vcc_lo
	v_cmp_neq_f32_e32 vcc_lo, 1.0, v2
	s_mov_b32 s0, 0x3e76c4e1
	v_cvt_f32_i32_e32 v3, v3
	v_cndmask_b32_e32 v4, 1.0, v3, vcc_lo
	v_cmp_neq_f32_e32 vcc_lo, 0, v4
	v_cndmask_b32_e32 v5, 1.0, v2, vcc_lo
	v_frexp_mant_f32_e64 v2, |v5|
	v_cmp_eq_f32_e64 s2, 0, v5
	v_cmp_gt_f32_e32 vcc_lo, 0x3f2aaaab, v2
	v_cndmask_b32_e64 v3, 1.0, 2.0, vcc_lo
	v_mul_f32_e32 v2, v2, v3
	v_add_f32_e32 v3, 1.0, v2
	v_add_f32_e32 v7, -1.0, v2
	v_rcp_f32_e32 v6, v3
	v_add_f32_e32 v9, -1.0, v3
	v_sub_f32_e32 v2, v2, v9
	v_mul_f32_e32 v8, v7, v6
	v_mul_f32_e32 v10, v3, v8
	v_fma_f32 v3, v8, v3, -v10
	v_fmac_f32_e32 v3, v8, v2
	v_add_f32_e32 v2, v10, v3
	v_sub_f32_e32 v9, v7, v2
	v_sub_f32_e32 v10, v2, v10
	;; [unrolled: 1-line block ×5, first 2 shown]
	v_add_f32_e32 v2, v3, v2
	v_add_f32_e32 v2, v9, v2
	v_mul_f32_e32 v2, v6, v2
	v_add_f32_e32 v6, v8, v2
	v_sub_f32_e32 v3, v6, v8
	v_mul_f32_e32 v7, v6, v6
	v_sub_f32_e32 v8, v2, v3
	v_fma_f32 v2, v6, v6, -v7
	v_add_f32_e32 v3, v8, v8
	v_fmac_f32_e32 v2, v6, v3
	v_add_f32_e32 v9, v7, v2
	v_fmaak_f32 v3, s0, v9, 0x3e91f4c4
	v_sub_f32_e32 v7, v9, v7
	v_mul_f32_e32 v14, v6, v9
	v_fmaak_f32 v3, v9, v3, 0x3ecccdef
	v_sub_f32_e32 v7, v2, v7
	v_fma_f32 v15, v9, v6, -v14
	v_mul_f32_e32 v10, v9, v3
	v_fmac_f32_e32 v15, v9, v8
	v_ldexp_f32 v8, v8, 1
	v_fma_f32 v11, v9, v3, -v10
	v_fmac_f32_e32 v15, v7, v6
	v_fmac_f32_e32 v11, v7, v3
	v_cvt_f64_f32_e64 v[2:3], |v5|
	v_add_f32_e32 v12, v10, v11
	v_sub_f32_e32 v10, v12, v10
	v_add_f32_e32 v13, 0x3f2aaaaa, v12
	v_sub_f32_e32 v10, v11, v10
	v_add_f32_e32 v11, 0xbf2aaaaa, v13
	v_add_f32_e32 v10, 0x31739010, v10
	v_sub_f32_e32 v11, v12, v11
	v_frexp_exp_i32_f64_e32 v2, v[2:3]
	v_add_f32_e32 v9, v10, v11
	v_add_f32_e32 v10, v14, v15
	;; [unrolled: 1-line block ×3, first 2 shown]
	v_sub_f32_e32 v12, v10, v14
	v_sub_f32_e32 v3, v13, v7
	v_mul_f32_e32 v11, v10, v7
	v_sub_f32_e32 v12, v15, v12
	v_add_f32_e32 v3, v9, v3
	v_fma_f32 v9, v10, v7, -v11
	v_subrev_co_ci_u32_e64 v2, null, 0, v2, vcc_lo
	v_fmac_f32_e32 v9, v10, v3
	v_ldexp_f32 v3, v6, 1
	v_cvt_f32_i32_e32 v2, v2
	v_fmac_f32_e32 v9, v12, v7
	v_add_f32_e32 v6, v11, v9
	v_add_f32_e32 v7, v3, v6
	v_sub_f32_e32 v10, v6, v11
	v_mul_f32_e32 v11, 0x3f317218, v2
	v_sub_f32_e32 v3, v7, v3
	v_sub_f32_e32 v9, v9, v10
	v_fma_f32 v10, 0x3f317218, v2, -v11
	v_sub_f32_e32 v3, v6, v3
	v_add_f32_e32 v6, v8, v9
	v_fmamk_f32 v2, v2, 0xb102e308, v10
	v_add_f32_e32 v3, v6, v3
	v_add_f32_e32 v6, v11, v2
	;; [unrolled: 1-line block ×3, first 2 shown]
	v_sub_f32_e32 v11, v6, v11
	v_add_f32_e32 v9, v6, v8
	v_sub_f32_e32 v7, v8, v7
	v_sub_f32_e32 v2, v2, v11
	;; [unrolled: 1-line block ×6, first 2 shown]
	v_add_f32_e32 v8, v2, v3
	v_sub_f32_e32 v6, v6, v12
	v_add_f32_e32 v6, v7, v6
	v_sub_f32_e32 v7, v8, v2
	;; [unrolled: 2-line block ×3, first 2 shown]
	v_sub_f32_e32 v3, v3, v7
	v_add_f32_e32 v10, v9, v6
	v_sub_f32_e32 v2, v2, v8
	v_sub_f32_e32 v7, v10, v9
	v_add_f32_e32 v2, v3, v2
	v_sub_f32_e32 v3, v6, v7
	v_add_f32_e32 v2, v2, v3
	v_add_f32_e32 v3, v10, v2
	v_sub_f32_e32 v6, v3, v10
	v_mul_f32_e32 v7, v4, v3
	v_sub_f32_e32 v2, v2, v6
	v_fma_f32 v3, v4, v3, -v7
	v_cmp_class_f32_e64 vcc_lo, v7, 0x204
	v_fmac_f32_e32 v3, v4, v2
	v_add_f32_e32 v2, v7, v3
	v_cndmask_b32_e32 v6, v2, v7, vcc_lo
	v_sub_f32_e32 v2, v2, v7
	v_cmp_eq_f32_e32 vcc_lo, 0x42b17218, v6
	v_sub_f32_e32 v2, v3, v2
	v_cndmask_b32_e64 v8, 0, 0x37000000, vcc_lo
	v_cmp_neq_f32_e64 vcc_lo, 0x7f800000, |v6|
	v_sub_f32_e32 v9, v6, v8
	v_cndmask_b32_e32 v2, 0, v2, vcc_lo
	v_trunc_f32_e32 v6, v4
	v_mul_f32_e32 v10, 0x3fb8aa3b, v9
	v_cmp_ngt_f32_e32 vcc_lo, 0xc2ce8ed0, v9
	v_add_f32_e32 v2, v8, v2
	v_fma_f32 v11, 0x3fb8aa3b, v9, -v10
	v_rndne_f32_e32 v12, v10
	v_fmamk_f32 v11, v9, 0x32a5705f, v11
	v_sub_f32_e32 v10, v10, v12
	v_cvt_i32_f32_e32 v7, v12
	v_add_f32_e32 v10, v10, v11
	v_exp_f32_e32 v10, v10
	v_ldexp_f32 v3, v10, v7
	v_mul_f32_e32 v7, 0.5, v4
	v_cndmask_b32_e32 v3, 0, v3, vcc_lo
	v_cmp_nlt_f32_e32 vcc_lo, 0x42b17218, v9
	v_trunc_f32_e32 v10, v7
	v_cndmask_b32_e32 v3, 0x7f800000, v3, vcc_lo
	v_cmp_eq_f32_e32 vcc_lo, v6, v4
	v_cmp_neq_f32_e64 s0, v10, v7
	v_fma_f32 v2, v3, v2, v3
	v_cmp_class_f32_e64 s1, v3, 0x204
	s_and_b32 s0, vcc_lo, s0
	v_cndmask_b32_e64 v6, 1.0, v5, s0
	v_cndmask_b32_e64 v2, v2, v3, s1
	v_cmp_gt_f32_e64 s1, 0, v4
	v_bfi_b32 v2, 0x7fffffff, v2, v6
	s_xor_b32 s1, s1, s2
	v_cndmask_b32_e64 v6, 0, v5, s0
	v_cndmask_b32_e64 v3, 0x7f800000, 0, s1
	v_cmp_class_f32_e64 s0, v5, 0x204
	v_cndmask_b32_e32 v4, 0x7fc00000, v2, vcc_lo
	v_cmp_gt_f32_e32 vcc_lo, 0, v5
	v_bfi_b32 v3, 0x7fffffff, v3, v6
	v_cndmask_b32_e32 v2, v2, v4, vcc_lo
	s_or_b32 vcc_lo, s2, s0
	v_cndmask_b32_e32 v2, v2, v3, vcc_lo
	v_cmp_o_f32_e32 vcc_lo, v5, v5
	v_cndmask_b32_e32 v67, 0x7fc00000, v2, vcc_lo
.LBB27_2:
	s_load_dwordx16 s[8:23], s[4:5], 0x0
	v_cmp_eq_u32_e64 s0, 0, v1
	v_mbcnt_lo_u32_b32 v66, -1, 0
	s_mul_hi_u32 s36, s44, s25
	s_mul_hi_u32 s38, s42, s3
	s_and_saveexec_b32 s25, s0
	s_cbranch_execz .LBB27_11
; %bb.3:
	s_load_dwordx4 s[48:51], s[4:5], 0x70
	v_lshlrev_b32_e32 v15, 4, v0
	v_xor_b32_e32 v6, 4, v66
	v_xor_b32_e32 v8, 2, v66
	;; [unrolled: 1-line block ×3, first 2 shown]
	v_cmp_gt_i32_e32 vcc_lo, 32, v6
	s_waitcnt lgkmcnt(0)
	s_mul_i32 s1, s33, s50
	s_mul_i32 s2, s48, s6
	;; [unrolled: 1-line block ×3, first 2 shown]
	s_add_i32 s1, s1, s2
	s_add_i32 s1, s1, s3
	s_ashr_i32 s3, s1, 31
	s_add_u32 s2, s8, s1
	s_addc_u32 s3, s9, s3
	s_mov_b32 s8, exec_lo
	global_load_dwordx4 v[2:5], v15, s[2:3]
	s_waitcnt vmcnt(0)
	v_mul_f32_e32 v9, s24, v2
	v_mul_f32_e32 v11, s24, v3
	v_cndmask_b32_e32 v3, v66, v6, vcc_lo
	v_mul_f32_e32 v13, s24, v4
	v_mul_f32_e32 v12, s24, v5
	v_cmp_gt_i32_e32 vcc_lo, 32, v8
	v_max_f32_e64 v7, |v9|, |v11|
	v_lshlrev_b32_e32 v6, 2, v3
	v_fma_f32 v2, s24, v2, v11
	v_cndmask_b32_e32 v8, v66, v8, vcc_lo
	v_max3_f32 v3, v7, |v13|, |v12|
	v_cmp_gt_i32_e32 vcc_lo, 32, v10
	v_fmac_f32_e32 v2, s24, v4
	v_lshlrev_b32_e32 v8, 2, v8
	ds_bpermute_b32 v7, v6, v3
	v_cndmask_b32_e32 v10, v66, v10, vcc_lo
	v_fmac_f32_e32 v2, s24, v5
	ds_bpermute_b32 v5, v6, v2
	s_waitcnt lgkmcnt(1)
	v_max_f32_e32 v7, v7, v7
	v_max_f32_e32 v3, v3, v7
	s_waitcnt lgkmcnt(0)
	v_add_f32_e32 v2, v2, v5
	ds_bpermute_b32 v7, v8, v3
	s_waitcnt lgkmcnt(0)
	v_max_f32_e32 v14, v7, v7
	v_lshlrev_b32_e32 v7, 2, v10
	v_max_f32_e32 v3, v3, v14
	ds_bpermute_b32 v10, v7, v3
	s_waitcnt lgkmcnt(0)
	v_max_f32_e32 v4, v10, v10
	ds_bpermute_b32 v10, v8, v2
	v_max_f32_e32 v3, v3, v4
	v_div_scale_f32 v4, null, 0x42fe0000, 0x42fe0000, v3
	v_div_scale_f32 v16, vcc_lo, v3, 0x42fe0000, v3
	v_rcp_f32_e32 v14, v4
	v_fma_f32 v5, -v4, v14, 1.0
	v_fmac_f32_e32 v14, v5, v14
	s_waitcnt lgkmcnt(0)
	v_add_f32_e32 v5, v2, v10
	v_mul_f32_e32 v17, v16, v14
	ds_bpermute_b32 v10, v7, v5
	v_fma_f32 v18, -v4, v17, v16
	v_fmac_f32_e32 v17, v18, v14
	v_fma_f32 v2, -v4, v17, v16
	v_div_fmas_f32 v2, v2, v14, v17
	v_mov_b32_e32 v14, 0
	v_div_fixup_f32 v4, v2, 0x42fe0000, v3
	v_add_co_u32 v2, s1, s2, v15
	v_add_co_ci_u32_e64 v3, null, s3, 0, s1
	v_cmpx_neq_f32_e32 0, v4
	s_cbranch_execz .LBB27_5
; %bb.4:
	v_div_scale_f32 v14, null, v4, v4, v9
	v_div_scale_f32 v15, null, v4, v4, v11
	;; [unrolled: 1-line block ×3, first 2 shown]
	v_rcp_f32_e32 v16, v14
	v_div_scale_f32 v18, null, v4, v4, v12
	v_rcp_f32_e32 v19, v15
	v_rcp_f32_e32 v20, v17
	v_div_scale_f32 v24, vcc_lo, v9, v4, v9
	v_rcp_f32_e32 v21, v18
	v_fma_f32 v22, -v14, v16, 1.0
	v_fma_f32 v23, -v15, v19, 1.0
	;; [unrolled: 1-line block ×3, first 2 shown]
	v_fmac_f32_e32 v16, v22, v16
	v_div_scale_f32 v22, s1, v11, v4, v11
	v_fma_f32 v26, -v18, v21, 1.0
	v_fmac_f32_e32 v19, v23, v19
	v_fmac_f32_e32 v20, v25, v20
	v_div_scale_f32 v23, s2, v13, v4, v13
	v_fmac_f32_e32 v21, v26, v21
	v_mul_f32_e32 v26, v24, v16
	v_mul_f32_e32 v27, v22, v19
	;; [unrolled: 1-line block ×3, first 2 shown]
	v_div_scale_f32 v25, s3, v12, v4, v12
	v_fma_f32 v30, -v14, v26, v24
	v_fma_f32 v31, -v15, v27, v22
	;; [unrolled: 1-line block ×3, first 2 shown]
	v_mul_f32_e32 v29, v25, v21
	v_fmac_f32_e32 v26, v30, v16
	v_fmac_f32_e32 v27, v31, v19
	;; [unrolled: 1-line block ×3, first 2 shown]
	v_fma_f32 v33, -v18, v29, v25
	v_fma_f32 v14, -v14, v26, v24
	;; [unrolled: 1-line block ×4, first 2 shown]
	v_fmac_f32_e32 v29, v33, v21
	v_div_fmas_f32 v14, v14, v16, v26
	s_mov_b32 vcc_lo, s1
	v_div_fmas_f32 v15, v15, v19, v27
	s_mov_b32 vcc_lo, s2
	v_div_fixup_f32 v9, v14, v4, v9
	v_div_fmas_f32 v16, v17, v20, v28
	v_fma_f32 v17, -v18, v29, v25
	s_mov_b32 vcc_lo, s3
	v_div_fixup_f32 v11, v15, v4, v11
	v_div_fixup_f32 v13, v16, v4, v13
	v_div_fmas_f32 v16, v17, v21, v29
	v_trunc_f32_e32 v15, v11
	v_trunc_f32_e32 v17, v13
	v_div_fixup_f32 v12, v16, v4, v12
	v_trunc_f32_e32 v16, v9
	v_sub_f32_e32 v19, v11, v15
	v_sub_f32_e32 v14, v13, v17
	v_trunc_f32_e32 v18, v12
	v_sub_f32_e32 v21, v9, v16
	v_cmp_ge_f32_e64 s1, |v14|, 0.5
	v_sub_f32_e32 v20, v12, v18
	v_cndmask_b32_e64 v14, 0, 1.0, s1
	v_cmp_ge_f32_e64 s1, |v19|, 0.5
	v_bfi_b32 v13, 0x7fffffff, v14, v13
	v_cndmask_b32_e64 v14, 0, 1.0, s1
	v_cmp_ge_f32_e64 s1, |v20|, 0.5
	v_add_f32_e32 v13, v17, v13
	v_bfi_b32 v11, 0x7fffffff, v14, v11
	v_cndmask_b32_e64 v19, 0, 1.0, s1
	v_cmp_ge_f32_e64 s1, |v21|, 0.5
	v_mov_b32_e32 v14, 8
	v_cvt_i32_f32_e32 v13, v13
	v_add_f32_e32 v11, v15, v11
	v_bfi_b32 v12, 0x7fffffff, v19, v12
	v_cndmask_b32_e64 v17, 0, 1.0, s1
	v_and_b32_e32 v13, 0xff, v13
	v_cvt_i32_f32_e32 v11, v11
	v_add_f32_e32 v12, v18, v12
	v_bfi_b32 v9, 0x7fffffff, v17, v9
	v_lshlrev_b32_e32 v13, 16, v13
	v_lshlrev_b32_sdwa v11, v14, v11 dst_sel:DWORD dst_unused:UNUSED_PAD src0_sel:DWORD src1_sel:BYTE_0
	v_cvt_i32_f32_e32 v12, v12
	v_add_f32_e32 v9, v16, v9
	v_lshl_or_b32 v12, v12, 24, v13
	v_cvt_i32_f32_e32 v9, v9
	v_and_b32_e32 v9, 0xff, v9
	v_or3_b32 v14, v12, v11, v9
.LBB27_5:
	s_or_b32 exec_lo, exec_lo, s8
	v_and_b32_e32 v11, 7, v0
	v_lshlrev_b32_e32 v9, 2, v0
	v_cmp_eq_u32_e64 s1, 0, v11
	ds_write_b32 v9, v14
	s_and_saveexec_b32 s2, s1
	s_cbranch_execz .LBB27_7
; %bb.6:
	s_waitcnt lgkmcnt(1)
	v_add_f32_e32 v5, v5, v10
	ds_write_b64 v0, v[4:5] offset:256
.LBB27_7:
	s_or_b32 exec_lo, exec_lo, s2
	global_load_dwordx4 v[13:16], v[2:3], off offset:512
	s_mov_b32 s9, exec_lo
	s_waitcnt vmcnt(0)
	v_mul_f32_e32 v5, s24, v13
	s_waitcnt lgkmcnt(1)
	v_mul_f32_e32 v10, s24, v14
	v_mul_f32_e32 v12, s24, v15
	v_mul_f32_e32 v11, s24, v16
	v_max_f32_e64 v2, |v5|, |v10|
	v_fma_f32 v4, s24, v13, v10
	v_max3_f32 v2, v2, |v12|, |v11|
	v_fmac_f32_e32 v4, s24, v15
	ds_bpermute_b32 v3, v6, v2
	v_fmac_f32_e32 v4, s24, v16
	ds_bpermute_b32 v6, v6, v4
	s_waitcnt lgkmcnt(1)
	v_max_f32_e32 v3, v3, v3
	v_max_f32_e32 v2, v2, v3
	ds_bpermute_b32 v3, v8, v2
	s_waitcnt lgkmcnt(0)
	v_max_f32_e32 v3, v3, v3
	v_max_f32_e32 v2, v2, v3
	;; [unrolled: 4-line block ×3, first 2 shown]
	v_add_f32_e32 v3, v4, v6
	v_div_scale_f32 v13, null, 0x42fe0000, 0x42fe0000, v2
	ds_bpermute_b32 v6, v8, v3
	v_div_scale_f32 v8, vcc_lo, v2, 0x42fe0000, v2
	v_rcp_f32_e32 v14, v13
	v_fma_f32 v4, -v13, v14, 1.0
	v_fmac_f32_e32 v14, v4, v14
	s_waitcnt lgkmcnt(0)
	v_add_f32_e32 v3, v3, v6
	v_mul_f32_e32 v15, v8, v14
	v_fma_f32 v4, -v13, v15, v8
	v_fmac_f32_e32 v15, v4, v14
	ds_bpermute_b32 v4, v7, v3
	v_fma_f32 v6, -v13, v15, v8
	v_div_fmas_f32 v6, v6, v14, v15
	v_div_fixup_f32 v2, v6, 0x42fe0000, v2
	v_mov_b32_e32 v6, 0
	v_cmpx_neq_f32_e32 0, v2
	s_cbranch_execz .LBB27_9
; %bb.8:
	v_div_scale_f32 v6, null, v2, v2, v5
	v_div_scale_f32 v7, null, v2, v2, v10
	v_div_scale_f32 v13, null, v2, v2, v12
	v_rcp_f32_e32 v8, v6
	v_div_scale_f32 v14, null, v2, v2, v11
	v_rcp_f32_e32 v15, v7
	v_rcp_f32_e32 v16, v13
	v_div_scale_f32 v20, vcc_lo, v5, v2, v5
	v_rcp_f32_e32 v17, v14
	v_fma_f32 v18, -v6, v8, 1.0
	v_fma_f32 v19, -v7, v15, 1.0
	;; [unrolled: 1-line block ×3, first 2 shown]
	v_fmac_f32_e32 v8, v18, v8
	v_div_scale_f32 v18, s2, v10, v2, v10
	v_fma_f32 v22, -v14, v17, 1.0
	v_fmac_f32_e32 v15, v19, v15
	v_fmac_f32_e32 v16, v21, v16
	v_div_scale_f32 v19, s3, v12, v2, v12
	v_fmac_f32_e32 v17, v22, v17
	v_mul_f32_e32 v22, v20, v8
	v_mul_f32_e32 v23, v18, v15
	;; [unrolled: 1-line block ×3, first 2 shown]
	v_div_scale_f32 v21, s8, v11, v2, v11
	v_fma_f32 v26, -v6, v22, v20
	v_fma_f32 v27, -v7, v23, v18
	;; [unrolled: 1-line block ×3, first 2 shown]
	v_mul_f32_e32 v25, v21, v17
	v_fmac_f32_e32 v22, v26, v8
	v_fmac_f32_e32 v23, v27, v15
	;; [unrolled: 1-line block ×3, first 2 shown]
	v_fma_f32 v29, -v14, v25, v21
	v_fma_f32 v6, -v6, v22, v20
	;; [unrolled: 1-line block ×4, first 2 shown]
	v_fmac_f32_e32 v25, v29, v17
	v_div_fmas_f32 v6, v6, v8, v22
	s_mov_b32 vcc_lo, s2
	v_div_fmas_f32 v7, v7, v15, v23
	s_mov_b32 vcc_lo, s3
	v_div_fixup_f32 v5, v6, v2, v5
	v_div_fmas_f32 v8, v13, v16, v24
	v_fma_f32 v13, -v14, v25, v21
	s_mov_b32 vcc_lo, s8
	v_div_fixup_f32 v7, v7, v2, v10
	v_div_fixup_f32 v8, v8, v2, v12
	v_div_fmas_f32 v12, v13, v17, v25
	v_trunc_f32_e32 v13, v8
	v_div_fixup_f32 v6, v12, v2, v11
	v_trunc_f32_e32 v11, v7
	v_trunc_f32_e32 v12, v5
	v_sub_f32_e32 v10, v8, v13
	v_trunc_f32_e32 v14, v6
	v_sub_f32_e32 v15, v7, v11
	v_sub_f32_e32 v17, v5, v12
	v_cmp_ge_f32_e64 s2, |v10|, 0.5
	v_sub_f32_e32 v16, v6, v14
	v_cndmask_b32_e64 v10, 0, 1.0, s2
	v_cmp_ge_f32_e64 s2, |v15|, 0.5
	v_bfi_b32 v8, 0x7fffffff, v10, v8
	v_cndmask_b32_e64 v10, 0, 1.0, s2
	v_cmp_ge_f32_e64 s2, |v16|, 0.5
	v_add_f32_e32 v8, v13, v8
	v_bfi_b32 v7, 0x7fffffff, v10, v7
	v_cndmask_b32_e64 v15, 0, 1.0, s2
	v_cmp_ge_f32_e64 s2, |v17|, 0.5
	v_mov_b32_e32 v10, 8
	v_cvt_i32_f32_e32 v8, v8
	v_add_f32_e32 v7, v11, v7
	v_bfi_b32 v6, 0x7fffffff, v15, v6
	v_cndmask_b32_e64 v13, 0, 1.0, s2
	v_and_b32_e32 v8, 0xff, v8
	v_cvt_i32_f32_e32 v7, v7
	v_add_f32_e32 v6, v14, v6
	v_bfi_b32 v5, 0x7fffffff, v13, v5
	v_lshlrev_b32_e32 v8, 16, v8
	v_lshlrev_b32_sdwa v7, v10, v7 dst_sel:DWORD dst_unused:UNUSED_PAD src0_sel:DWORD src1_sel:BYTE_0
	v_cvt_i32_f32_e32 v6, v6
	v_add_f32_e32 v5, v12, v5
	v_lshl_or_b32 v6, v6, 24, v8
	v_cvt_i32_f32_e32 v5, v5
	v_and_b32_e32 v5, 0xff, v5
	v_or3_b32 v6, v6, v7, v5
.LBB27_9:
	s_or_b32 exec_lo, exec_lo, s9
	ds_write_b32 v9, v6 offset:128
	s_and_b32 exec_lo, exec_lo, s1
	s_cbranch_execz .LBB27_11
; %bb.10:
	s_waitcnt lgkmcnt(1)
	v_add_f32_e32 v3, v3, v4
	ds_write_b64 v0, v[2:3] offset:288
.LBB27_11:
	s_or_b32 exec_lo, exec_lo, s25
	v_and_b32_e32 v19, 1, v0
	v_mov_b32_e32 v76, 0
	s_waitcnt lgkmcnt(0)
	s_barrier
	buffer_gl0_inv
	v_lshlrev_b32_e32 v71, 2, v19
	s_ashr_i32 s31, s30, 31
	s_ashr_i32 s1, s40, 31
	;; [unrolled: 1-line block ×3, first 2 shown]
	s_cmp_eq_u64 s[18:19], 0
	ds_read2_b32 v[34:35], v71 offset1:2
	ds_read2_b32 v[36:37], v71 offset0:4 offset1:6
	ds_read2_b32 v[38:39], v71 offset0:8 offset1:10
	;; [unrolled: 1-line block ×3, first 2 shown]
	ds_read_b128 v[2:5], v76 offset:256
	ds_read_b128 v[6:9], v76 offset:272
	;; [unrolled: 1-line block ×4, first 2 shown]
	ds_read2_b32 v[42:43], v71 offset0:16 offset1:18
	ds_read2_b32 v[44:45], v71 offset0:20 offset1:22
	;; [unrolled: 1-line block ×12, first 2 shown]
	s_waitcnt lgkmcnt(0)
	s_barrier
	buffer_gl0_inv
	s_cbranch_scc1 .LBB27_13
; %bb.12:
	s_load_dword s2, s[4:5], 0xd0
	s_mov_b32 s3, 0
	s_waitcnt lgkmcnt(0)
	s_mul_i32 s2, s2, s33
	s_add_i32 s2, s2, s6
	s_lshl_b64 s[2:3], s[2:3], 2
	s_add_u32 s2, s18, s2
	s_addc_u32 s3, s19, s3
	s_load_dword s34, s[2:3], 0x0
.LBB27_13:
	v_lshlrev_b32_e32 v18, 5, v1
	v_lshlrev_b32_e32 v70, 2, v0
	s_lshl_b32 s2, s7, 7
	s_mov_b32 s9, 0
	s_waitcnt lgkmcnt(0)
	s_cmp_ge_i32 s2, s34
	v_add_nc_u32_e32 v68, v18, v0
	v_lshlrev_b32_e32 v69, 1, v68
	s_cbranch_scc1 .LBB27_29
; %bb.14:
	s_clause 0x1
	s_load_dwordx4 s[24:27], s[4:5], 0x98
	s_load_dwordx2 s[18:19], s[4:5], 0x8c
	v_xor_b32_e32 v105, 2, v66
	s_xor_b32 s45, s31, s1
	v_or_b32_e32 v21, 56, v71
	v_cmp_eq_u32_e64 s1, 0, v19
	v_xor_b32_e32 v19, 4, v66
	v_cmp_gt_i32_e32 vcc_lo, 32, v105
	v_xor_b32_e32 v106, 8, v66
	v_and_b32_e32 v87, 12, v21
	v_and_b32_e32 v88, 28, v21
	v_or_b32_e32 v22, 0x58, v71
	v_cndmask_b32_e32 v21, v66, v105, vcc_lo
	v_cmp_gt_i32_e32 vcc_lo, 32, v19
	s_mul_i32 s50, s36, s43
	s_add_i32 s48, s36, 1
	v_and_b32_e32 v89, 12, v22
	v_and_b32_e32 v91, 28, v22
	v_cndmask_b32_e32 v19, v66, v19, vcc_lo
	v_cmp_gt_i32_e32 vcc_lo, 32, v106
	s_waitcnt lgkmcnt(0)
	v_mul_lo_u32 v75, v18, s26
	s_mul_hi_u32 s51, s24, s33
	s_mul_i32 s52, s24, s8
	s_sub_i32 s44, s44, s50
	v_cndmask_b32_e32 v22, v66, v106, vcc_lo
	s_mul_i32 s25, s25, s33
	s_add_i32 s51, s51, s52
	s_mul_i32 s47, s38, s35
	v_add_nc_u32_e32 v77, s26, v75
	s_mul_i32 s46, s39, s6
	s_clause 0x2
	s_load_dwordx2 s[40:41], s[4:5], 0xa8
	s_load_dwordx2 s[38:39], s[4:5], 0xc8
	s_load_dword s49, s[4:5], 0xd4
	s_sub_i32 s50, s44, s43
	s_add_i32 s51, s51, s25
	v_add_nc_u32_e32 v78, s26, v77
	s_cmp_ge_u32 s44, s43
	s_mul_i32 s24, s24, s33
	s_cselect_b32 s25, s48, s36
	s_cselect_b32 s36, s50, s44
	v_add_nc_u32_e32 v82, s26, v78
	s_add_i32 s44, s25, 1
	s_cmp_ge_u32 s36, s43
	v_and_b32_e32 v20, 0x7e, v0
	s_cselect_b32 s25, s44, s25
	v_add_nc_u32_e32 v84, s26, v82
	s_xor_b32 s25, s25, s45
	v_and_b32_e32 v32, 30, v66
	s_sub_i32 s25, s25, s45
	v_xor_b32_e32 v107, 16, v66
	v_add_nc_u32_e32 v85, s26, v84
	s_mul_i32 s19, s25, s19
	s_mul_i32 s25, s25, s27
	s_ashr_i32 s27, s19, 31
	s_add_u32 s10, s10, s24
	v_add_nc_u32_e32 v90, s26, v85
	s_waitcnt lgkmcnt(0)
	s_mul_hi_u32 s36, s40, s33
	s_mul_i32 s43, s40, s8
	s_addc_u32 s11, s11, s51
	s_add_u32 s24, s10, s19
	v_add_nc_u32_e32 v95, s26, v90
	s_mul_i32 s41, s41, s33
	s_addc_u32 s27, s11, s27
	s_add_i32 s10, s36, s43
	s_mul_i32 s40, s40, s33
	v_add_nc_u32_e32 v100, s26, v95
	s_ashr_i32 s11, s25, 31
	s_add_i32 s10, s10, s41
	s_add_u32 s12, s12, s40
	s_addc_u32 s10, s13, s10
	v_add_nc_u32_e32 v104, s26, v100
	s_add_u32 s13, s12, s25
	s_addc_u32 s19, s10, s11
	s_sub_i32 s10, s42, s47
	v_or_b32_e32 v23, 0x78, v71
	v_add_nc_u32_e32 v105, s26, v104
	s_sub_i32 s11, s10, s35
	s_cmp_ge_u32 s10, s35
	v_xor_b32_e32 v76, 1, v66
	s_cselect_b32 s10, s11, s10
	v_add_nc_u32_e32 v106, s26, v105
	s_sub_i32 s11, s10, s35
	s_cmp_ge_u32 s10, s35
	v_lshlrev_b32_e32 v79, 1, v18
	s_cselect_b32 s10, s11, s10
	v_add_nc_u32_e32 v109, s26, v106
	s_xor_b32 s10, s10, s8
	v_add_nc_u32_e32 v18, v18, v20
	s_sub_i32 s8, s10, s8
	v_add_nc_u32_e32 v20, 2, v32
	v_add_nc_u32_e32 v112, s26, v109
	s_ashr_i32 s10, s8, 31
	s_mul_hi_u32 s11, s38, s8
	s_mul_i32 s10, s38, s10
	v_cmp_gt_i32_e32 vcc_lo, 32, v107
	v_add_nc_u32_e32 v114, s26, v112
	s_mul_i32 s12, s39, s8
	s_add_i32 s10, s11, s10
	s_mul_i32 s8, s38, s8
	s_add_i32 s10, s10, s12
	v_add_nc_u32_e32 v115, s26, v114
	s_add_u32 s8, s14, s8
	s_mov_b32 s3, s9
	s_addc_u32 s10, s15, s10
	s_ashr_i32 s11, s46, 31
	v_add_nc_u32_e32 v116, s26, v115
	v_and_b32_e32 v92, 12, v23
	v_and_b32_e32 v93, 28, v23
	v_cndmask_b32_e32 v23, v66, v107, vcc_lo
	v_cmp_lt_i32_e32 vcc_lo, v76, v20
	v_add_nc_u32_e32 v117, s26, v116
	s_add_u32 s8, s8, s46
	s_addc_u32 s12, s10, s11
	s_lshl_b64 s[10:11], s[2:3], 1
	v_mul_lo_u32 v130, v18, s18
	v_add_nc_u32_e32 v118, s26, v117
	s_mul_i32 s25, s26, s2
	s_add_u32 s3, s8, s10
	s_addc_u32 s12, s12, s11
	v_or_b32_e32 v72, 24, v71
	v_add_nc_u32_e32 v119, s26, v118
	v_or_b32_e32 v24, 0x98, v71
	v_or_b32_e32 v25, 0xb8, v71
	;; [unrolled: 1-line block ×4, first 2 shown]
	v_add_nc_u32_e32 v120, s26, v119
	v_add_nc_u32_e32 v108, 0x80, v70
	v_cndmask_b32_e32 v20, v66, v76, vcc_lo
	s_mul_i32 s35, s18, s2
	s_add_u32 s13, s13, s25
	v_add_nc_u32_e32 v121, s26, v120
	s_addc_u32 s19, s19, 0
	s_add_u32 s24, s24, s35
	s_addc_u32 s25, s27, 0
	s_cmp_lg_u64 s[14:15], 0
	v_add_nc_u32_e32 v123, s26, v121
	v_mov_b32_e32 v28, 0
	v_or_b32_e32 v73, 8, v71
	v_or_b32_e32 v74, 16, v71
	v_bfe_u32 v80, v0, 3, 27
	v_add_nc_u32_e32 v125, s26, v123
	v_and_b32_e32 v81, 28, v70
	v_mov_b32_e32 v30, 0xfeffffff
	v_mov_b32_e32 v83, 0x10001
	;; [unrolled: 1-line block ×3, first 2 shown]
	v_add_nc_u32_e32 v126, s26, v125
	v_mov_b32_e32 v27, 0
	v_mov_b32_e32 v26, 0
	v_and_b32_e32 v86, 12, v72
	v_and_b32_e32 v94, 12, v24
	v_add_nc_u32_e32 v127, s26, v126
	v_and_b32_e32 v96, 28, v24
	v_and_b32_e32 v97, 12, v25
	;; [unrolled: 1-line block ×4, first 2 shown]
	v_add_nc_u32_e32 v128, s26, v127
	v_and_b32_e32 v101, 28, v31
	v_and_b32_e32 v102, 12, v33
	;; [unrolled: 1-line block ×3, first 2 shown]
	v_lshrrev_b32_e32 v107, 5, v108
	v_add_nc_u32_e32 v129, s26, v128
	v_and_b32_e32 v108, 28, v108
	v_lshlrev_b32_e32 v110, 2, v21
	v_lshlrev_b32_e32 v111, 2, v19
	;; [unrolled: 1-line block ×3, first 2 shown]
	v_add_nc_u32_e32 v131, s26, v129
	v_lshlrev_b32_e32 v122, 2, v23
	v_lshlrev_b32_e32 v124, 1, v18
	;; [unrolled: 1-line block ×3, first 2 shown]
	v_add_nc_u32_e32 v135, s18, v130
	v_add_nc_u32_e32 v132, s26, v131
	v_ashrrev_i32_e32 v136, 31, v127
	v_ashrrev_i32_e32 v137, 31, v128
	;; [unrolled: 1-line block ×4, first 2 shown]
	v_add_nc_u32_e32 v134, s26, v132
	v_ashrrev_i32_e32 v141, 31, v132
	v_mov_b32_e32 v76, 0
	s_cselect_b32 s14, -1, 0
	s_lshl_b32 s8, s49, 7
	v_add_nc_u32_e32 v138, s26, v134
	v_ashrrev_i32_e32 v142, 31, v134
	s_mul_i32 s15, s8, s18
	s_mul_i32 s18, s8, s26
	s_mov_b32 s26, 0xbbbac73d
	v_ashrrev_i32_e32 v143, 31, v138
	s_lshl_b64 s[10:11], s[8:9], 1
.LBB27_15:                              ; =>This Inner Loop Header: Depth=1
	v_ashrrev_i32_e32 v19, 31, v130
	v_add_co_u32 v18, vcc_lo, s24, v130
	v_add_co_ci_u32_e64 v19, null, s25, v19, vcc_lo
	v_add_co_u32 v20, vcc_lo, v18, v71
	v_add_co_ci_u32_e64 v21, null, 0, v19, vcc_lo
	s_clause 0x1
	global_load_dwordx2 v[22:23], v[18:19], off
	global_load_dword v24, v[20:21], off offset:8
	s_waitcnt vmcnt(1)
	v_ashrrev_i32_e32 v31, v71, v23
	s_waitcnt vmcnt(0)
	v_and_b32_e32 v25, 0xf0f0f0f, v24
	v_lshrrev_b32_e32 v24, 4, v24
	v_lshlrev_b32_e32 v32, 4, v31
	v_lshlrev_b32_e32 v33, 11, v31
	;; [unrolled: 1-line block ×4, first 2 shown]
	v_and_b32_e32 v24, 0xf0f0f0f, v24
	v_and_b32_e32 v32, 16, v32
	v_and_b32_e32 v33, 0x1000, v33
	v_and_b32_e32 v144, 0x100000, v144
	v_and_b32_e32 v31, 0x10000000, v31
	v_or3_b32 v25, v31, v25, v144
	v_mov_b32_e32 v31, 0
	v_or3_b32 v25, v25, v32, v33
	v_ashrrev_i32_e32 v33, v73, v23
	v_dot4c_i32_i8 v31, v25, v34
	v_cvt_f32_f16_e32 v25, v22
	v_lshlrev_b32_e32 v144, 4, v33
	v_lshlrev_b32_e32 v145, 11, v33
	;; [unrolled: 1-line block ×4, first 2 shown]
	v_mul_f32_e32 v32, v2, v25
	v_cvt_f32_i32_e32 v25, v31
	global_load_dword v31, v[20:21], off offset:16
	v_and_b32_e32 v144, 16, v144
	v_and_b32_e32 v146, 0x100000, v146
	;; [unrolled: 1-line block ×3, first 2 shown]
	v_cvt_f32_f16_sdwa v22, v22 dst_sel:DWORD dst_unused:UNUSED_PAD src0_sel:WORD_1
	v_and_b32_e32 v145, 0x1000, v145
	v_or3_b32 v33, v146, v33, v144
	v_mul_f32_e32 v22, v3, v22
	v_mul_f32_e32 v22, 0x3e000000, v22
	v_fma_f32 v25, v32, v25, v22
	v_add_f32_e32 v25, 0, v25
	s_waitcnt vmcnt(0)
	v_and_b32_e32 v31, 0xf0f0f0f, v31
	v_or3_b32 v31, v33, v145, v31
	v_mov_b32_e32 v33, 0
	v_dot4c_i32_i8 v33, v31, v35
	v_cvt_f32_i32_e32 v31, v33
	v_fma_f32 v31, v32, v31, v22
	v_add_f32_e32 v25, v25, v31
	v_ashrrev_i32_e32 v31, v74, v23
	v_ashrrev_i32_e32 v23, v72, v23
	v_lshlrev_b32_e32 v33, 4, v31
	v_lshlrev_b32_e32 v144, 11, v31
	;; [unrolled: 1-line block ×4, first 2 shown]
	v_and_b32_e32 v33, 16, v33
	v_and_b32_e32 v144, 0x1000, v144
	;; [unrolled: 1-line block ×4, first 2 shown]
	v_or3_b32 v24, v31, v24, v145
	v_mov_b32_e32 v31, 0
	v_or3_b32 v24, v24, v33, v144
	v_lshlrev_b32_e32 v33, 11, v23
	v_lshlrev_b32_e32 v144, 18, v23
	v_dot4c_i32_i8 v31, v24, v36
	v_and_b32_e32 v33, 0x1000, v33
	v_and_b32_e32 v144, 0x100000, v144
	v_cvt_f32_i32_e32 v24, v31
	v_fma_f32 v24, v32, v24, v22
	v_add_f32_e32 v31, v24, v25
	v_add_co_u32 v24, vcc_lo, v18, v86
	v_add_co_ci_u32_e64 v25, null, 0, v19, vcc_lo
	global_load_dword v24, v[24:25], off offset:8
	v_lshlrev_b32_e32 v25, 4, v23
	v_lshlrev_b32_e32 v23, 25, v23
	v_and_b32_e32 v25, 16, v25
	v_and_b32_e32 v23, 0x10000000, v23
	v_or3_b32 v23, v144, v23, v25
	global_load_dword v25, v[20:21], off offset:32
	s_waitcnt vmcnt(1)
	v_lshrrev_b32_e32 v24, 4, v24
	v_and_b32_e32 v24, 0xf0f0f0f, v24
	v_or3_b32 v23, v23, v33, v24
	v_mov_b32_e32 v24, 0
	v_dot4c_i32_i8 v24, v23, v37
	v_cvt_f32_i32_e32 v23, v24
	v_fmac_f32_e32 v22, v32, v23
	v_add_f32_e32 v24, v31, v22
	global_load_dwordx2 v[22:23], v[18:19], off offset:24
	s_waitcnt vmcnt(1)
	v_and_b32_e32 v31, 0xf0f0f0f, v25
	v_lshrrev_b32_e32 v25, 4, v25
	v_and_b32_e32 v25, 0xf0f0f0f, v25
	s_waitcnt vmcnt(0)
	v_ashrrev_i32_e32 v32, v71, v23
	v_lshlrev_b32_e32 v33, 4, v32
	v_lshlrev_b32_e32 v144, 11, v32
	;; [unrolled: 1-line block ×4, first 2 shown]
	v_and_b32_e32 v33, 16, v33
	v_and_b32_e32 v144, 0x1000, v144
	;; [unrolled: 1-line block ×4, first 2 shown]
	v_or3_b32 v31, v32, v31, v145
	v_mov_b32_e32 v32, 0
	v_or3_b32 v31, v31, v33, v144
	v_ashrrev_i32_e32 v33, v73, v23
	v_dot4c_i32_i8 v32, v31, v38
	v_cvt_f32_f16_e32 v31, v22
	v_cvt_f32_f16_sdwa v22, v22 dst_sel:DWORD dst_unused:UNUSED_PAD src0_sel:WORD_1
	v_lshlrev_b32_e32 v144, 4, v33
	v_lshlrev_b32_e32 v145, 11, v33
	v_cvt_f32_i32_e32 v32, v32
	v_mul_f32_e32 v31, v4, v31
	v_mul_f32_e32 v22, v5, v22
	v_lshlrev_b32_e32 v146, 18, v33
	v_lshlrev_b32_e32 v33, 25, v33
	v_and_b32_e32 v144, 16, v144
	v_and_b32_e32 v145, 0x1000, v145
	v_mul_f32_e32 v22, 0x3e000000, v22
	v_and_b32_e32 v146, 0x100000, v146
	v_and_b32_e32 v33, 0x10000000, v33
	v_fma_f32 v32, v31, v32, v22
	v_or3_b32 v33, v146, v33, v144
	v_add_f32_e32 v24, v24, v32
	global_load_dword v32, v[20:21], off offset:40
	s_waitcnt vmcnt(0)
	v_and_b32_e32 v32, 0xf0f0f0f, v32
	v_or3_b32 v32, v33, v145, v32
	v_mov_b32_e32 v33, 0
	v_dot4c_i32_i8 v33, v32, v39
	v_cvt_f32_i32_e32 v32, v33
	v_fma_f32 v32, v31, v32, v22
	v_add_f32_e32 v24, v24, v32
	v_ashrrev_i32_e32 v32, v74, v23
	v_ashrrev_i32_e32 v23, v88, v23
	v_lshlrev_b32_e32 v33, 4, v32
	v_lshlrev_b32_e32 v144, 11, v32
	;; [unrolled: 1-line block ×4, first 2 shown]
	v_and_b32_e32 v33, 16, v33
	v_and_b32_e32 v144, 0x1000, v144
	;; [unrolled: 1-line block ×4, first 2 shown]
	v_or3_b32 v25, v32, v25, v145
	v_mov_b32_e32 v32, 0
	v_or3_b32 v25, v25, v33, v144
	v_lshlrev_b32_e32 v33, 11, v23
	v_lshlrev_b32_e32 v144, 18, v23
	v_dot4c_i32_i8 v32, v25, v40
	v_and_b32_e32 v33, 0x1000, v33
	v_and_b32_e32 v144, 0x100000, v144
	v_cvt_f32_i32_e32 v25, v32
	v_fma_f32 v25, v31, v25, v22
	v_add_f32_e32 v32, v25, v24
	v_add_co_u32 v24, vcc_lo, v18, v87
	v_add_co_ci_u32_e64 v25, null, 0, v19, vcc_lo
	global_load_dword v24, v[24:25], off offset:32
	v_lshlrev_b32_e32 v25, 4, v23
	v_lshlrev_b32_e32 v23, 25, v23
	v_and_b32_e32 v25, 16, v25
	v_and_b32_e32 v23, 0x10000000, v23
	v_or3_b32 v23, v144, v23, v25
	global_load_dword v25, v[20:21], off offset:56
	s_waitcnt vmcnt(1)
	v_lshrrev_b32_e32 v24, 4, v24
	v_and_b32_e32 v24, 0xf0f0f0f, v24
	v_or3_b32 v23, v23, v33, v24
	v_mov_b32_e32 v24, 0
	v_dot4c_i32_i8 v24, v23, v41
	v_cvt_f32_i32_e32 v23, v24
	v_fmac_f32_e32 v22, v31, v23
	v_add_f32_e32 v24, v32, v22
	global_load_dwordx2 v[22:23], v[18:19], off offset:48
	s_waitcnt vmcnt(1)
	v_and_b32_e32 v31, 0xf0f0f0f, v25
	v_lshrrev_b32_e32 v25, 4, v25
	v_and_b32_e32 v25, 0xf0f0f0f, v25
	s_waitcnt vmcnt(0)
	v_ashrrev_i32_e32 v32, v71, v23
	v_lshlrev_b32_e32 v33, 4, v32
	v_lshlrev_b32_e32 v144, 11, v32
	;; [unrolled: 1-line block ×4, first 2 shown]
	v_and_b32_e32 v33, 16, v33
	v_and_b32_e32 v144, 0x1000, v144
	v_and_b32_e32 v145, 0x100000, v145
	v_and_b32_e32 v32, 0x10000000, v32
	v_or3_b32 v31, v32, v31, v145
	v_mov_b32_e32 v32, 0
	v_or3_b32 v31, v31, v33, v144
	v_ashrrev_i32_e32 v33, v73, v23
	v_dot4c_i32_i8 v32, v31, v42
	v_cvt_f32_f16_e32 v31, v22
	v_cvt_f32_f16_sdwa v22, v22 dst_sel:DWORD dst_unused:UNUSED_PAD src0_sel:WORD_1
	v_lshlrev_b32_e32 v144, 4, v33
	v_lshlrev_b32_e32 v145, 11, v33
	v_cvt_f32_i32_e32 v32, v32
	v_mul_f32_e32 v31, v6, v31
	v_mul_f32_e32 v22, v7, v22
	v_lshlrev_b32_e32 v146, 18, v33
	v_lshlrev_b32_e32 v33, 25, v33
	v_and_b32_e32 v144, 16, v144
	v_and_b32_e32 v145, 0x1000, v145
	v_mul_f32_e32 v22, 0x3e000000, v22
	v_and_b32_e32 v146, 0x100000, v146
	v_and_b32_e32 v33, 0x10000000, v33
	v_fma_f32 v32, v31, v32, v22
	v_or3_b32 v33, v146, v33, v144
	v_add_f32_e32 v24, v24, v32
	global_load_dword v32, v[20:21], off offset:64
	s_waitcnt vmcnt(0)
	v_and_b32_e32 v32, 0xf0f0f0f, v32
	v_or3_b32 v32, v33, v145, v32
	v_mov_b32_e32 v33, 0
	v_dot4c_i32_i8 v33, v32, v43
	v_cvt_f32_i32_e32 v32, v33
	v_fma_f32 v32, v31, v32, v22
	v_add_f32_e32 v24, v24, v32
	v_ashrrev_i32_e32 v32, v74, v23
	v_ashrrev_i32_e32 v23, v91, v23
	v_lshlrev_b32_e32 v33, 4, v32
	v_lshlrev_b32_e32 v144, 11, v32
	;; [unrolled: 1-line block ×4, first 2 shown]
	v_and_b32_e32 v33, 16, v33
	v_and_b32_e32 v144, 0x1000, v144
	;; [unrolled: 1-line block ×4, first 2 shown]
	v_or3_b32 v25, v32, v25, v145
	v_mov_b32_e32 v32, 0
	v_or3_b32 v25, v25, v33, v144
	v_lshlrev_b32_e32 v33, 11, v23
	v_lshlrev_b32_e32 v144, 18, v23
	v_dot4c_i32_i8 v32, v25, v44
	v_and_b32_e32 v33, 0x1000, v33
	v_and_b32_e32 v144, 0x100000, v144
	v_cvt_f32_i32_e32 v25, v32
	v_fma_f32 v25, v31, v25, v22
	v_add_f32_e32 v32, v25, v24
	v_add_co_u32 v24, vcc_lo, v18, v89
	v_add_co_ci_u32_e64 v25, null, 0, v19, vcc_lo
	global_load_dword v24, v[24:25], off offset:56
	v_lshlrev_b32_e32 v25, 4, v23
	v_lshlrev_b32_e32 v23, 25, v23
	v_and_b32_e32 v25, 16, v25
	v_and_b32_e32 v23, 0x10000000, v23
	v_or3_b32 v23, v144, v23, v25
	s_waitcnt vmcnt(0)
	v_lshrrev_b32_e32 v24, 4, v24
	v_and_b32_e32 v24, 0xf0f0f0f, v24
	v_or3_b32 v23, v23, v33, v24
	v_mov_b32_e32 v24, 0
	v_dot4c_i32_i8 v24, v23, v45
	v_cvt_f32_i32_e32 v23, v24
	v_fmac_f32_e32 v22, v31, v23
	global_load_dwordx2 v[23:24], v[18:19], off offset:72
	v_add_f32_e32 v25, v32, v22
	global_load_dword v22, v[20:21], off offset:80
	s_waitcnt vmcnt(1)
	v_ashrrev_i32_e32 v32, v71, v24
	v_lshlrev_b32_e32 v33, 4, v32
	v_lshlrev_b32_e32 v144, 11, v32
	;; [unrolled: 1-line block ×4, first 2 shown]
	s_waitcnt vmcnt(0)
	v_and_b32_e32 v31, 0xf0f0f0f, v22
	v_and_b32_e32 v33, 16, v33
	;; [unrolled: 1-line block ×5, first 2 shown]
	v_lshrrev_b32_e32 v22, 4, v22
	v_or3_b32 v31, v32, v31, v145
	v_mov_b32_e32 v32, 0
	v_and_b32_e32 v22, 0xf0f0f0f, v22
	v_or3_b32 v31, v31, v33, v144
	v_dot4c_i32_i8 v32, v31, v46
	v_cvt_f32_f16_e32 v31, v23
	v_cvt_f32_f16_sdwa v23, v23 dst_sel:DWORD dst_unused:UNUSED_PAD src0_sel:WORD_1
	v_cvt_f32_i32_e32 v32, v32
	v_mul_f32_e32 v31, v8, v31
	v_mul_f32_e32 v23, v9, v23
	;; [unrolled: 1-line block ×3, first 2 shown]
	v_fma_f32 v23, v31, v32, v33
	v_ashrrev_i32_e32 v32, v73, v24
	v_add_f32_e32 v23, v25, v23
	global_load_dword v25, v[20:21], off offset:88
	v_lshlrev_b32_e32 v144, 4, v32
	v_lshlrev_b32_e32 v145, 11, v32
	;; [unrolled: 1-line block ×4, first 2 shown]
	v_and_b32_e32 v144, 16, v144
	v_and_b32_e32 v145, 0x1000, v145
	;; [unrolled: 1-line block ×4, first 2 shown]
	v_or3_b32 v32, v146, v32, v144
	s_waitcnt vmcnt(0)
	v_and_b32_e32 v25, 0xf0f0f0f, v25
	v_or3_b32 v25, v32, v145, v25
	v_mov_b32_e32 v32, 0
	v_dot4c_i32_i8 v32, v25, v47
	v_cvt_f32_i32_e32 v25, v32
	v_fma_f32 v25, v31, v25, v33
	v_add_f32_e32 v23, v23, v25
	v_ashrrev_i32_e32 v25, v74, v24
	v_lshlrev_b32_e32 v32, 4, v25
	v_lshlrev_b32_e32 v144, 11, v25
	;; [unrolled: 1-line block ×4, first 2 shown]
	v_and_b32_e32 v32, 16, v32
	v_and_b32_e32 v144, 0x1000, v144
	;; [unrolled: 1-line block ×4, first 2 shown]
	v_or3_b32 v22, v25, v22, v145
	v_mov_b32_e32 v25, 0
	v_or3_b32 v22, v22, v32, v144
	v_dot4c_i32_i8 v25, v22, v48
	v_cvt_f32_i32_e32 v22, v25
	v_fma_f32 v22, v31, v22, v33
	v_add_f32_e32 v25, v22, v23
	v_add_co_u32 v22, vcc_lo, v18, v92
	v_add_co_ci_u32_e64 v23, null, 0, v19, vcc_lo
	global_load_dword v22, v[22:23], off offset:80
	v_ashrrev_i32_e32 v23, v93, v24
	v_lshlrev_b32_e32 v24, 4, v23
	v_lshlrev_b32_e32 v32, 11, v23
	;; [unrolled: 1-line block ×4, first 2 shown]
	v_and_b32_e32 v24, 16, v24
	v_and_b32_e32 v32, 0x1000, v32
	;; [unrolled: 1-line block ×4, first 2 shown]
	v_or3_b32 v23, v144, v23, v24
	s_waitcnt vmcnt(0)
	v_lshrrev_b32_e32 v22, 4, v22
	v_and_b32_e32 v22, 0xf0f0f0f, v22
	v_or3_b32 v22, v23, v32, v22
	v_mov_b32_e32 v23, 0
	v_dot4c_i32_i8 v23, v22, v49
	v_cvt_f32_i32_e32 v22, v23
	v_fmac_f32_e32 v33, v31, v22
	global_load_dwordx2 v[22:23], v[18:19], off offset:96
	v_add_f32_e32 v24, v25, v33
	global_load_dword v25, v[20:21], off offset:104
	s_waitcnt vmcnt(1)
	v_ashrrev_i32_e32 v32, v71, v23
	v_lshlrev_b32_e32 v33, 4, v32
	v_lshlrev_b32_e32 v144, 11, v32
	;; [unrolled: 1-line block ×4, first 2 shown]
	s_waitcnt vmcnt(0)
	v_and_b32_e32 v31, 0xf0f0f0f, v25
	v_and_b32_e32 v33, 16, v33
	;; [unrolled: 1-line block ×5, first 2 shown]
	v_lshrrev_b32_e32 v25, 4, v25
	v_or3_b32 v31, v32, v31, v145
	v_mov_b32_e32 v32, 0
	v_and_b32_e32 v25, 0xf0f0f0f, v25
	v_or3_b32 v31, v31, v33, v144
	v_ashrrev_i32_e32 v33, v73, v23
	v_dot4c_i32_i8 v32, v31, v50
	v_cvt_f32_f16_e32 v31, v22
	v_cvt_f32_f16_sdwa v22, v22 dst_sel:DWORD dst_unused:UNUSED_PAD src0_sel:WORD_1
	v_lshlrev_b32_e32 v144, 4, v33
	v_lshlrev_b32_e32 v145, 11, v33
	v_cvt_f32_i32_e32 v32, v32
	v_mul_f32_e32 v31, v10, v31
	v_mul_f32_e32 v22, v11, v22
	v_lshlrev_b32_e32 v146, 18, v33
	v_lshlrev_b32_e32 v33, 25, v33
	v_and_b32_e32 v144, 16, v144
	v_and_b32_e32 v145, 0x1000, v145
	v_mul_f32_e32 v22, 0x3e000000, v22
	v_and_b32_e32 v146, 0x100000, v146
	v_and_b32_e32 v33, 0x10000000, v33
	v_fma_f32 v32, v31, v32, v22
	v_or3_b32 v33, v146, v33, v144
	v_add_f32_e32 v24, v24, v32
	global_load_dword v32, v[20:21], off offset:112
	s_waitcnt vmcnt(0)
	v_and_b32_e32 v32, 0xf0f0f0f, v32
	v_or3_b32 v32, v33, v145, v32
	v_mov_b32_e32 v33, 0
	v_dot4c_i32_i8 v33, v32, v51
	v_cvt_f32_i32_e32 v32, v33
	v_fma_f32 v32, v31, v32, v22
	v_add_f32_e32 v24, v24, v32
	v_ashrrev_i32_e32 v32, v74, v23
	v_ashrrev_i32_e32 v23, v96, v23
	v_lshlrev_b32_e32 v33, 4, v32
	v_lshlrev_b32_e32 v144, 11, v32
	;; [unrolled: 1-line block ×4, first 2 shown]
	v_and_b32_e32 v33, 16, v33
	v_and_b32_e32 v144, 0x1000, v144
	;; [unrolled: 1-line block ×4, first 2 shown]
	v_or3_b32 v25, v32, v25, v145
	v_mov_b32_e32 v32, 0
	v_or3_b32 v25, v25, v33, v144
	v_lshlrev_b32_e32 v33, 11, v23
	v_lshlrev_b32_e32 v144, 18, v23
	v_dot4c_i32_i8 v32, v25, v52
	v_and_b32_e32 v33, 0x1000, v33
	v_and_b32_e32 v144, 0x100000, v144
	v_cvt_f32_i32_e32 v25, v32
	v_fma_f32 v25, v31, v25, v22
	v_add_f32_e32 v32, v25, v24
	v_add_co_u32 v24, vcc_lo, v18, v94
	v_add_co_ci_u32_e64 v25, null, 0, v19, vcc_lo
	global_load_dword v24, v[24:25], off offset:104
	v_lshlrev_b32_e32 v25, 4, v23
	v_lshlrev_b32_e32 v23, 25, v23
	v_and_b32_e32 v25, 16, v25
	v_and_b32_e32 v23, 0x10000000, v23
	v_or3_b32 v23, v144, v23, v25
	global_load_dword v25, v[20:21], off offset:128
	s_waitcnt vmcnt(1)
	v_lshrrev_b32_e32 v24, 4, v24
	v_and_b32_e32 v24, 0xf0f0f0f, v24
	v_or3_b32 v23, v23, v33, v24
	v_mov_b32_e32 v24, 0
	v_dot4c_i32_i8 v24, v23, v53
	v_cvt_f32_i32_e32 v23, v24
	v_fmac_f32_e32 v22, v31, v23
	v_add_f32_e32 v24, v32, v22
	global_load_dwordx2 v[22:23], v[18:19], off offset:120
	s_waitcnt vmcnt(1)
	v_and_b32_e32 v31, 0xf0f0f0f, v25
	v_lshrrev_b32_e32 v25, 4, v25
	v_and_b32_e32 v25, 0xf0f0f0f, v25
	s_waitcnt vmcnt(0)
	v_ashrrev_i32_e32 v32, v71, v23
	v_lshlrev_b32_e32 v33, 4, v32
	v_lshlrev_b32_e32 v144, 11, v32
	;; [unrolled: 1-line block ×4, first 2 shown]
	v_and_b32_e32 v33, 16, v33
	v_and_b32_e32 v144, 0x1000, v144
	v_and_b32_e32 v145, 0x100000, v145
	v_and_b32_e32 v32, 0x10000000, v32
	v_or3_b32 v31, v32, v31, v145
	v_mov_b32_e32 v32, 0
	v_or3_b32 v31, v31, v33, v144
	v_ashrrev_i32_e32 v33, v73, v23
	v_dot4c_i32_i8 v32, v31, v54
	v_cvt_f32_f16_e32 v31, v22
	v_cvt_f32_f16_sdwa v22, v22 dst_sel:DWORD dst_unused:UNUSED_PAD src0_sel:WORD_1
	v_lshlrev_b32_e32 v144, 4, v33
	v_lshlrev_b32_e32 v145, 11, v33
	v_cvt_f32_i32_e32 v32, v32
	v_mul_f32_e32 v31, v12, v31
	v_mul_f32_e32 v22, v13, v22
	v_lshlrev_b32_e32 v146, 18, v33
	v_lshlrev_b32_e32 v33, 25, v33
	v_and_b32_e32 v144, 16, v144
	v_and_b32_e32 v145, 0x1000, v145
	v_mul_f32_e32 v22, 0x3e000000, v22
	v_and_b32_e32 v146, 0x100000, v146
	v_and_b32_e32 v33, 0x10000000, v33
	v_fma_f32 v32, v31, v32, v22
	v_or3_b32 v33, v146, v33, v144
	v_add_f32_e32 v24, v24, v32
	global_load_dword v32, v[20:21], off offset:136
	s_waitcnt vmcnt(0)
	v_and_b32_e32 v32, 0xf0f0f0f, v32
	v_or3_b32 v32, v33, v145, v32
	v_mov_b32_e32 v33, 0
	v_dot4c_i32_i8 v33, v32, v55
	v_cvt_f32_i32_e32 v32, v33
	v_fma_f32 v32, v31, v32, v22
	v_add_f32_e32 v24, v24, v32
	v_ashrrev_i32_e32 v32, v74, v23
	v_ashrrev_i32_e32 v23, v98, v23
	v_lshlrev_b32_e32 v33, 4, v32
	v_lshlrev_b32_e32 v144, 11, v32
	;; [unrolled: 1-line block ×4, first 2 shown]
	v_and_b32_e32 v33, 16, v33
	v_and_b32_e32 v144, 0x1000, v144
	;; [unrolled: 1-line block ×4, first 2 shown]
	v_or3_b32 v25, v32, v25, v145
	v_mov_b32_e32 v32, 0
	v_or3_b32 v25, v25, v33, v144
	v_lshlrev_b32_e32 v33, 11, v23
	v_lshlrev_b32_e32 v144, 18, v23
	v_dot4c_i32_i8 v32, v25, v56
	v_and_b32_e32 v33, 0x1000, v33
	v_and_b32_e32 v144, 0x100000, v144
	v_cvt_f32_i32_e32 v25, v32
	v_fma_f32 v25, v31, v25, v22
	v_add_f32_e32 v32, v25, v24
	v_add_co_u32 v24, vcc_lo, v18, v97
	v_add_co_ci_u32_e64 v25, null, 0, v19, vcc_lo
	global_load_dword v24, v[24:25], off offset:128
	v_lshlrev_b32_e32 v25, 4, v23
	v_lshlrev_b32_e32 v23, 25, v23
	v_and_b32_e32 v25, 16, v25
	v_and_b32_e32 v23, 0x10000000, v23
	v_or3_b32 v23, v144, v23, v25
	global_load_dword v25, v[20:21], off offset:152
	s_waitcnt vmcnt(1)
	v_lshrrev_b32_e32 v24, 4, v24
	v_and_b32_e32 v24, 0xf0f0f0f, v24
	v_or3_b32 v23, v23, v33, v24
	v_mov_b32_e32 v24, 0
	v_dot4c_i32_i8 v24, v23, v57
	v_cvt_f32_i32_e32 v23, v24
	v_fmac_f32_e32 v22, v31, v23
	v_add_f32_e32 v24, v32, v22
	global_load_dwordx2 v[22:23], v[18:19], off offset:144
	s_waitcnt vmcnt(1)
	v_and_b32_e32 v31, 0xf0f0f0f, v25
	v_lshrrev_b32_e32 v25, 4, v25
	v_and_b32_e32 v25, 0xf0f0f0f, v25
	s_waitcnt vmcnt(0)
	v_ashrrev_i32_e32 v32, v71, v23
	v_lshlrev_b32_e32 v33, 4, v32
	v_lshlrev_b32_e32 v144, 11, v32
	;; [unrolled: 1-line block ×4, first 2 shown]
	v_and_b32_e32 v33, 16, v33
	v_and_b32_e32 v144, 0x1000, v144
	;; [unrolled: 1-line block ×4, first 2 shown]
	v_or3_b32 v31, v32, v31, v145
	v_mov_b32_e32 v32, 0
	v_or3_b32 v31, v31, v33, v144
	v_ashrrev_i32_e32 v33, v73, v23
	v_dot4c_i32_i8 v32, v31, v58
	v_cvt_f32_f16_e32 v31, v22
	v_cvt_f32_f16_sdwa v22, v22 dst_sel:DWORD dst_unused:UNUSED_PAD src0_sel:WORD_1
	v_lshlrev_b32_e32 v144, 4, v33
	v_lshlrev_b32_e32 v145, 11, v33
	v_cvt_f32_i32_e32 v32, v32
	v_mul_f32_e32 v31, v14, v31
	v_mul_f32_e32 v22, v15, v22
	v_lshlrev_b32_e32 v146, 18, v33
	v_lshlrev_b32_e32 v33, 25, v33
	v_and_b32_e32 v144, 16, v144
	v_and_b32_e32 v145, 0x1000, v145
	v_mul_f32_e32 v22, 0x3e000000, v22
	v_and_b32_e32 v146, 0x100000, v146
	v_and_b32_e32 v33, 0x10000000, v33
	v_fma_f32 v32, v31, v32, v22
	v_or3_b32 v33, v146, v33, v144
	v_add_f32_e32 v24, v24, v32
	global_load_dword v32, v[20:21], off offset:160
	s_waitcnt vmcnt(0)
	v_and_b32_e32 v32, 0xf0f0f0f, v32
	v_or3_b32 v32, v33, v145, v32
	v_mov_b32_e32 v33, 0
	v_dot4c_i32_i8 v33, v32, v59
	v_cvt_f32_i32_e32 v32, v33
	v_fma_f32 v32, v31, v32, v22
	v_add_f32_e32 v24, v24, v32
	v_ashrrev_i32_e32 v32, v74, v23
	v_ashrrev_i32_e32 v23, v101, v23
	v_lshlrev_b32_e32 v33, 4, v32
	v_lshlrev_b32_e32 v144, 11, v32
	;; [unrolled: 1-line block ×4, first 2 shown]
	v_and_b32_e32 v33, 16, v33
	v_and_b32_e32 v144, 0x1000, v144
	;; [unrolled: 1-line block ×4, first 2 shown]
	v_or3_b32 v25, v32, v25, v145
	v_mov_b32_e32 v32, 0
	v_or3_b32 v25, v25, v33, v144
	v_lshlrev_b32_e32 v33, 11, v23
	v_lshlrev_b32_e32 v144, 18, v23
	v_dot4c_i32_i8 v32, v25, v60
	v_and_b32_e32 v33, 0x1000, v33
	v_and_b32_e32 v144, 0x100000, v144
	v_cvt_f32_i32_e32 v25, v32
	v_fma_f32 v25, v31, v25, v22
	v_add_f32_e32 v32, v25, v24
	v_add_co_u32 v24, vcc_lo, v18, v99
	v_add_co_ci_u32_e64 v25, null, 0, v19, vcc_lo
	global_load_dword v24, v[24:25], off offset:152
	v_lshlrev_b32_e32 v25, 4, v23
	v_lshlrev_b32_e32 v23, 25, v23
	v_and_b32_e32 v25, 16, v25
	v_and_b32_e32 v23, 0x10000000, v23
	v_or3_b32 v23, v144, v23, v25
	s_waitcnt vmcnt(0)
	v_lshrrev_b32_e32 v24, 4, v24
	v_and_b32_e32 v24, 0xf0f0f0f, v24
	v_or3_b32 v23, v23, v33, v24
	v_mov_b32_e32 v24, 0
	v_dot4c_i32_i8 v24, v23, v61
	v_cvt_f32_i32_e32 v23, v24
	v_fmac_f32_e32 v22, v31, v23
	global_load_dword v31, v[20:21], off offset:176
	v_add_f32_e32 v25, v32, v22
	s_clause 0x1
	global_load_dwordx2 v[22:23], v[18:19], off offset:168
	global_load_dword v20, v[20:21], off offset:184
	v_add_co_u32 v18, vcc_lo, v18, v102
	v_add_co_ci_u32_e64 v19, null, 0, v19, vcc_lo
	global_load_dword v18, v[18:19], off offset:176
	s_waitcnt vmcnt(3)
	v_and_b32_e32 v24, 0xf0f0f0f, v31
	s_waitcnt vmcnt(2)
	v_ashrrev_i32_e32 v32, v71, v23
	v_ashrrev_i32_e32 v21, v73, v23
	s_waitcnt vmcnt(1)
	v_and_b32_e32 v20, 0xf0f0f0f, v20
	v_ashrrev_i32_e32 v19, v103, v23
	v_lshlrev_b32_e32 v33, 4, v32
	v_lshlrev_b32_e32 v144, 11, v32
	;; [unrolled: 1-line block ×4, first 2 shown]
	s_waitcnt vmcnt(0)
	v_lshrrev_b32_e32 v18, 4, v18
	v_and_b32_e32 v33, 16, v33
	v_and_b32_e32 v144, 0x1000, v144
	;; [unrolled: 1-line block ×5, first 2 shown]
	v_or3_b32 v24, v32, v24, v145
	v_mov_b32_e32 v32, 0
	v_or3_b32 v24, v24, v33, v144
	v_lshlrev_b32_e32 v33, 11, v21
	v_lshlrev_b32_e32 v144, 18, v21
	v_dot4c_i32_i8 v32, v24, v62
	v_cvt_f32_f16_e32 v24, v22
	v_cvt_f32_f16_sdwa v22, v22 dst_sel:DWORD dst_unused:UNUSED_PAD src0_sel:WORD_1
	v_and_b32_e32 v144, 0x100000, v144
	v_and_b32_e32 v33, 0x1000, v33
	v_cvt_f32_i32_e32 v32, v32
	v_mul_f32_e32 v24, v16, v24
	v_mul_f32_e32 v22, v17, v22
	;; [unrolled: 1-line block ×3, first 2 shown]
	v_fma_f32 v32, v24, v32, v22
	v_add_f32_e32 v25, v25, v32
	v_lshlrev_b32_e32 v32, 4, v21
	v_lshlrev_b32_e32 v21, 25, v21
	v_and_b32_e32 v32, 16, v32
	v_and_b32_e32 v21, 0x10000000, v21
	v_or3_b32 v21, v144, v21, v32
	v_or3_b32 v20, v21, v33, v20
	v_mov_b32_e32 v21, 0
	v_dot4c_i32_i8 v21, v20, v63
	v_cvt_f32_i32_e32 v20, v21
	v_lshrrev_b32_e32 v21, 4, v31
	v_fma_f32 v20, v24, v20, v22
	v_and_b32_e32 v21, 0xf0f0f0f, v21
	v_add_f32_e32 v20, v25, v20
	v_ashrrev_i32_e32 v25, v74, v23
	v_lshlrev_b32_e32 v23, 11, v19
	v_lshlrev_b32_e32 v31, 4, v25
	;; [unrolled: 1-line block ×5, first 2 shown]
	v_and_b32_e32 v23, 0x1000, v23
	v_and_b32_e32 v31, 16, v31
	;; [unrolled: 1-line block ×5, first 2 shown]
	v_or3_b32 v21, v25, v21, v33
	v_mov_b32_e32 v25, 0
	v_or3_b32 v21, v21, v31, v32
	v_dot4c_i32_i8 v25, v21, v64
	v_cvt_f32_i32_e32 v21, v25
	v_lshlrev_b32_e32 v25, 18, v19
	v_fma_f32 v21, v24, v21, v22
	v_and_b32_e32 v25, 0x100000, v25
	v_add_f32_e32 v20, v21, v20
	v_lshlrev_b32_e32 v21, 4, v19
	v_lshlrev_b32_e32 v19, 25, v19
	v_and_b32_e32 v21, 16, v21
	v_and_b32_e32 v19, 0x10000000, v19
	v_or3_b32 v19, v25, v19, v21
	v_or3_b32 v18, v19, v23, v18
	v_mov_b32_e32 v19, 0
	v_dot4c_i32_i8 v19, v18, v65
	v_cvt_f32_i32_e32 v18, v19
	v_fmac_f32_e32 v22, v24, v18
	v_add_f32_e32 v18, v20, v22
	ds_bpermute_b32 v19, v133, v18
	s_waitcnt lgkmcnt(0)
	v_add_f32_e32 v18, v18, v19
                                        ; implicit-def: $vgpr19
	v_cmp_ngt_f32_e64 s9, 0x3f200000, |v18|
	s_and_saveexec_b32 s27, s9
	s_xor_b32 s9, exec_lo, s27
	s_cbranch_execz .LBB27_17
; %bb.16:                               ;   in Loop: Header=BB27_15 Depth=1
	v_add_f32_e64 v19, |v18|, |v18|
	v_mul_f32_e32 v20, 0x3fb8aa3b, v19
	v_cmp_ngt_f32_e32 vcc_lo, 0xc2ce8ed0, v19
	v_rndne_f32_e32 v21, v20
	v_fma_f32 v22, 0x3fb8aa3b, v19, -v20
	v_sub_f32_e32 v20, v20, v21
	v_fmac_f32_e32 v22, 0x32a5705f, v19
	v_cvt_i32_f32_e32 v21, v21
	v_add_f32_e32 v20, v20, v22
	v_exp_f32_e32 v20, v20
	v_ldexp_f32 v20, v20, v21
	v_cndmask_b32_e32 v20, 0, v20, vcc_lo
	v_cmp_nlt_f32_e32 vcc_lo, 0x42b17218, v19
	v_cndmask_b32_e32 v19, 0x7f800000, v20, vcc_lo
	v_add_f32_e32 v19, 1.0, v19
	v_rcp_f32_e32 v19, v19
	v_fma_f32 v19, v19, -2.0, 1.0
.LBB27_17:                              ;   in Loop: Header=BB27_15 Depth=1
	s_andn2_saveexec_b32 s9, s9
	s_cbranch_execz .LBB27_19
; %bb.18:                               ;   in Loop: Header=BB27_15 Depth=1
	v_mul_f32_e32 v19, v18, v18
	v_fmaak_f32 v20, s26, v19, 0x3ca908c9
	v_fmaak_f32 v20, v19, v20, 0xbd5c1c4e
	;; [unrolled: 1-line block ×4, first 2 shown]
	v_mul_f32_e64 v20, |v18|, v20
	v_fma_f32 v19, v19, v20, |v18|
.LBB27_19:                              ;   in Loop: Header=BB27_15 Depth=1
	s_or_b32 exec_lo, exec_lo, s9
	v_bfi_b32 v20, 0x7fffffff, v19, v18
	v_add_co_u32 v18, s9, s3, v124
	v_add_co_ci_u32_e64 v19, null, s12, 0, s9
	v_mul_f32_e32 v31, s37, v20
	s_andn2_b32 vcc_lo, exec_lo, s14
	s_cbranch_vccnz .LBB27_21
; %bb.20:                               ;   in Loop: Header=BB27_15 Depth=1
	global_load_ushort v20, v[18:19], off
	s_waitcnt vmcnt(0)
	v_fma_mix_f32 v31, v67, v20, v31 op_sel_hi:[0,1,0]
.LBB27_21:                              ;   in Loop: Header=BB27_15 Depth=1
	v_ashrrev_i32_e32 v21, 31, v135
	v_add_co_u32 v20, vcc_lo, s24, v135
	v_add_co_ci_u32_e64 v21, null, s25, v21, vcc_lo
	v_add_co_u32 v22, vcc_lo, v20, v71
	v_add_co_ci_u32_e64 v23, null, 0, v21, vcc_lo
	s_clause 0x1
	global_load_dwordx2 v[24:25], v[20:21], off
	global_load_dword v32, v[22:23], off offset:8
	s_waitcnt vmcnt(1)
	v_ashrrev_i32_e32 v144, v71, v25
	s_waitcnt vmcnt(0)
	v_and_b32_e32 v33, 0xf0f0f0f, v32
	v_lshrrev_b32_e32 v32, 4, v32
	v_lshlrev_b32_e32 v145, 4, v144
	v_lshlrev_b32_e32 v146, 11, v144
	v_lshlrev_b32_e32 v147, 18, v144
	v_lshlrev_b32_e32 v144, 25, v144
	v_and_b32_e32 v32, 0xf0f0f0f, v32
	v_and_b32_e32 v145, 16, v145
	;; [unrolled: 1-line block ×5, first 2 shown]
	v_or3_b32 v33, v144, v33, v147
	v_mov_b32_e32 v144, 0
	v_or3_b32 v33, v33, v145, v146
	v_ashrrev_i32_e32 v146, v73, v25
	v_dot4c_i32_i8 v144, v33, v34
	v_cvt_f32_f16_e32 v33, v24
	v_lshlrev_b32_e32 v147, 4, v146
	v_lshlrev_b32_e32 v148, 11, v146
	;; [unrolled: 1-line block ×4, first 2 shown]
	v_mul_f32_e32 v145, v2, v33
	v_cvt_f32_i32_e32 v33, v144
	global_load_dword v144, v[22:23], off offset:16
	v_and_b32_e32 v147, 16, v147
	v_and_b32_e32 v149, 0x100000, v149
	;; [unrolled: 1-line block ×3, first 2 shown]
	v_cvt_f32_f16_sdwa v24, v24 dst_sel:DWORD dst_unused:UNUSED_PAD src0_sel:WORD_1
	v_and_b32_e32 v148, 0x1000, v148
	v_or3_b32 v146, v149, v146, v147
	v_mul_f32_e32 v24, v3, v24
	v_mul_f32_e32 v24, 0x3e000000, v24
	v_fma_f32 v33, v145, v33, v24
	v_add_f32_e32 v33, 0, v33
	s_waitcnt vmcnt(0)
	v_and_b32_e32 v144, 0xf0f0f0f, v144
	v_or3_b32 v144, v146, v148, v144
	v_mov_b32_e32 v146, 0
	v_dot4c_i32_i8 v146, v144, v35
	v_cvt_f32_i32_e32 v144, v146
	v_fma_f32 v144, v145, v144, v24
	v_add_f32_e32 v33, v33, v144
	v_ashrrev_i32_e32 v144, v74, v25
	v_ashrrev_i32_e32 v25, v72, v25
	v_lshlrev_b32_e32 v146, 4, v144
	v_lshlrev_b32_e32 v147, 11, v144
	;; [unrolled: 1-line block ×4, first 2 shown]
	v_and_b32_e32 v146, 16, v146
	v_and_b32_e32 v147, 0x1000, v147
	;; [unrolled: 1-line block ×4, first 2 shown]
	v_or3_b32 v32, v144, v32, v148
	v_mov_b32_e32 v144, 0
	v_or3_b32 v32, v32, v146, v147
	v_lshlrev_b32_e32 v146, 11, v25
	v_lshlrev_b32_e32 v147, 18, v25
	v_dot4c_i32_i8 v144, v32, v36
	v_and_b32_e32 v146, 0x1000, v146
	v_and_b32_e32 v147, 0x100000, v147
	v_cvt_f32_i32_e32 v32, v144
	v_fma_f32 v32, v145, v32, v24
	v_add_f32_e32 v144, v32, v33
	v_add_co_u32 v32, vcc_lo, v20, v86
	v_add_co_ci_u32_e64 v33, null, 0, v21, vcc_lo
	global_load_dword v32, v[32:33], off offset:8
	v_lshlrev_b32_e32 v33, 4, v25
	v_lshlrev_b32_e32 v25, 25, v25
	v_and_b32_e32 v33, 16, v33
	v_and_b32_e32 v25, 0x10000000, v25
	v_or3_b32 v25, v147, v25, v33
	global_load_dword v33, v[22:23], off offset:32
	s_waitcnt vmcnt(1)
	v_lshrrev_b32_e32 v32, 4, v32
	v_and_b32_e32 v32, 0xf0f0f0f, v32
	v_or3_b32 v25, v25, v146, v32
	v_mov_b32_e32 v32, 0
	v_dot4c_i32_i8 v32, v25, v37
	v_cvt_f32_i32_e32 v25, v32
	v_fmac_f32_e32 v24, v145, v25
	v_add_f32_e32 v32, v144, v24
	global_load_dwordx2 v[24:25], v[20:21], off offset:24
	s_waitcnt vmcnt(1)
	v_and_b32_e32 v144, 0xf0f0f0f, v33
	v_lshrrev_b32_e32 v33, 4, v33
	v_and_b32_e32 v33, 0xf0f0f0f, v33
	s_waitcnt vmcnt(0)
	v_ashrrev_i32_e32 v145, v71, v25
	v_lshlrev_b32_e32 v146, 4, v145
	v_lshlrev_b32_e32 v147, 11, v145
	;; [unrolled: 1-line block ×4, first 2 shown]
	v_and_b32_e32 v146, 16, v146
	v_and_b32_e32 v147, 0x1000, v147
	;; [unrolled: 1-line block ×4, first 2 shown]
	v_or3_b32 v144, v145, v144, v148
	v_mov_b32_e32 v145, 0
	v_or3_b32 v144, v144, v146, v147
	v_ashrrev_i32_e32 v146, v73, v25
	v_dot4c_i32_i8 v145, v144, v38
	v_cvt_f32_f16_e32 v144, v24
	v_cvt_f32_f16_sdwa v24, v24 dst_sel:DWORD dst_unused:UNUSED_PAD src0_sel:WORD_1
	v_lshlrev_b32_e32 v147, 4, v146
	v_lshlrev_b32_e32 v148, 11, v146
	v_cvt_f32_i32_e32 v145, v145
	v_mul_f32_e32 v144, v4, v144
	v_mul_f32_e32 v24, v5, v24
	v_lshlrev_b32_e32 v149, 18, v146
	v_lshlrev_b32_e32 v146, 25, v146
	v_and_b32_e32 v147, 16, v147
	v_and_b32_e32 v148, 0x1000, v148
	v_mul_f32_e32 v24, 0x3e000000, v24
	v_and_b32_e32 v149, 0x100000, v149
	v_and_b32_e32 v146, 0x10000000, v146
	v_fma_f32 v145, v144, v145, v24
	v_or3_b32 v146, v149, v146, v147
	v_add_f32_e32 v32, v32, v145
	global_load_dword v145, v[22:23], off offset:40
	s_waitcnt vmcnt(0)
	v_and_b32_e32 v145, 0xf0f0f0f, v145
	v_or3_b32 v145, v146, v148, v145
	v_mov_b32_e32 v146, 0
	v_dot4c_i32_i8 v146, v145, v39
	v_cvt_f32_i32_e32 v145, v146
	v_fma_f32 v145, v144, v145, v24
	v_add_f32_e32 v32, v32, v145
	v_ashrrev_i32_e32 v145, v74, v25
	v_ashrrev_i32_e32 v25, v88, v25
	v_lshlrev_b32_e32 v146, 4, v145
	v_lshlrev_b32_e32 v147, 11, v145
	;; [unrolled: 1-line block ×4, first 2 shown]
	v_and_b32_e32 v146, 16, v146
	v_and_b32_e32 v147, 0x1000, v147
	;; [unrolled: 1-line block ×4, first 2 shown]
	v_or3_b32 v33, v145, v33, v148
	v_mov_b32_e32 v145, 0
	v_or3_b32 v33, v33, v146, v147
	v_lshlrev_b32_e32 v146, 11, v25
	v_lshlrev_b32_e32 v147, 18, v25
	v_dot4c_i32_i8 v145, v33, v40
	v_and_b32_e32 v146, 0x1000, v146
	v_and_b32_e32 v147, 0x100000, v147
	v_cvt_f32_i32_e32 v33, v145
	v_fma_f32 v33, v144, v33, v24
	v_add_f32_e32 v145, v33, v32
	v_add_co_u32 v32, vcc_lo, v20, v87
	v_add_co_ci_u32_e64 v33, null, 0, v21, vcc_lo
	global_load_dword v32, v[32:33], off offset:32
	v_lshlrev_b32_e32 v33, 4, v25
	v_lshlrev_b32_e32 v25, 25, v25
	v_and_b32_e32 v33, 16, v33
	v_and_b32_e32 v25, 0x10000000, v25
	v_or3_b32 v25, v147, v25, v33
	global_load_dword v33, v[22:23], off offset:56
	s_waitcnt vmcnt(1)
	v_lshrrev_b32_e32 v32, 4, v32
	v_and_b32_e32 v32, 0xf0f0f0f, v32
	v_or3_b32 v25, v25, v146, v32
	v_mov_b32_e32 v32, 0
	v_dot4c_i32_i8 v32, v25, v41
	v_cvt_f32_i32_e32 v25, v32
	v_fmac_f32_e32 v24, v144, v25
	v_add_f32_e32 v32, v145, v24
	global_load_dwordx2 v[24:25], v[20:21], off offset:48
	s_waitcnt vmcnt(1)
	v_and_b32_e32 v144, 0xf0f0f0f, v33
	v_lshrrev_b32_e32 v33, 4, v33
	v_and_b32_e32 v33, 0xf0f0f0f, v33
	s_waitcnt vmcnt(0)
	v_ashrrev_i32_e32 v145, v71, v25
	v_lshlrev_b32_e32 v146, 4, v145
	v_lshlrev_b32_e32 v147, 11, v145
	;; [unrolled: 1-line block ×4, first 2 shown]
	v_and_b32_e32 v146, 16, v146
	v_and_b32_e32 v147, 0x1000, v147
	;; [unrolled: 1-line block ×4, first 2 shown]
	v_or3_b32 v144, v145, v144, v148
	v_mov_b32_e32 v145, 0
	v_or3_b32 v144, v144, v146, v147
	v_ashrrev_i32_e32 v146, v73, v25
	v_dot4c_i32_i8 v145, v144, v42
	v_cvt_f32_f16_e32 v144, v24
	v_cvt_f32_f16_sdwa v24, v24 dst_sel:DWORD dst_unused:UNUSED_PAD src0_sel:WORD_1
	v_lshlrev_b32_e32 v147, 4, v146
	v_lshlrev_b32_e32 v148, 11, v146
	v_cvt_f32_i32_e32 v145, v145
	v_mul_f32_e32 v144, v6, v144
	v_mul_f32_e32 v24, v7, v24
	v_lshlrev_b32_e32 v149, 18, v146
	v_lshlrev_b32_e32 v146, 25, v146
	v_and_b32_e32 v147, 16, v147
	v_and_b32_e32 v148, 0x1000, v148
	v_mul_f32_e32 v24, 0x3e000000, v24
	v_and_b32_e32 v149, 0x100000, v149
	v_and_b32_e32 v146, 0x10000000, v146
	v_fma_f32 v145, v144, v145, v24
	v_or3_b32 v146, v149, v146, v147
	v_add_f32_e32 v32, v32, v145
	global_load_dword v145, v[22:23], off offset:64
	s_waitcnt vmcnt(0)
	v_and_b32_e32 v145, 0xf0f0f0f, v145
	v_or3_b32 v145, v146, v148, v145
	v_mov_b32_e32 v146, 0
	v_dot4c_i32_i8 v146, v145, v43
	v_cvt_f32_i32_e32 v145, v146
	v_fma_f32 v145, v144, v145, v24
	v_add_f32_e32 v32, v32, v145
	v_ashrrev_i32_e32 v145, v74, v25
	v_ashrrev_i32_e32 v25, v91, v25
	v_lshlrev_b32_e32 v146, 4, v145
	v_lshlrev_b32_e32 v147, 11, v145
	;; [unrolled: 1-line block ×4, first 2 shown]
	v_and_b32_e32 v146, 16, v146
	v_and_b32_e32 v147, 0x1000, v147
	;; [unrolled: 1-line block ×4, first 2 shown]
	v_or3_b32 v33, v145, v33, v148
	v_mov_b32_e32 v145, 0
	v_or3_b32 v33, v33, v146, v147
	v_lshlrev_b32_e32 v146, 11, v25
	v_lshlrev_b32_e32 v147, 18, v25
	v_dot4c_i32_i8 v145, v33, v44
	v_and_b32_e32 v146, 0x1000, v146
	v_and_b32_e32 v147, 0x100000, v147
	v_cvt_f32_i32_e32 v33, v145
	v_fma_f32 v33, v144, v33, v24
	v_add_f32_e32 v145, v33, v32
	v_add_co_u32 v32, vcc_lo, v20, v89
	v_add_co_ci_u32_e64 v33, null, 0, v21, vcc_lo
	global_load_dword v32, v[32:33], off offset:56
	v_lshlrev_b32_e32 v33, 4, v25
	v_lshlrev_b32_e32 v25, 25, v25
	v_and_b32_e32 v33, 16, v33
	v_and_b32_e32 v25, 0x10000000, v25
	v_or3_b32 v25, v147, v25, v33
	s_waitcnt vmcnt(0)
	v_lshrrev_b32_e32 v32, 4, v32
	v_and_b32_e32 v32, 0xf0f0f0f, v32
	v_or3_b32 v25, v25, v146, v32
	v_mov_b32_e32 v32, 0
	v_dot4c_i32_i8 v32, v25, v45
	v_cvt_f32_i32_e32 v25, v32
	global_load_dwordx2 v[32:33], v[20:21], off offset:72
	v_fmac_f32_e32 v24, v144, v25
	v_add_f32_e32 v25, v145, v24
	global_load_dword v24, v[22:23], off offset:80
	s_waitcnt vmcnt(1)
	v_ashrrev_i32_e32 v145, v71, v33
	v_lshlrev_b32_e32 v146, 4, v145
	v_lshlrev_b32_e32 v147, 11, v145
	v_lshlrev_b32_e32 v148, 18, v145
	v_lshlrev_b32_e32 v145, 25, v145
	s_waitcnt vmcnt(0)
	v_and_b32_e32 v144, 0xf0f0f0f, v24
	v_and_b32_e32 v146, 16, v146
	;; [unrolled: 1-line block ×5, first 2 shown]
	v_lshrrev_b32_e32 v24, 4, v24
	v_or3_b32 v144, v145, v144, v148
	v_mov_b32_e32 v145, 0
	v_and_b32_e32 v24, 0xf0f0f0f, v24
	v_or3_b32 v144, v144, v146, v147
	v_ashrrev_i32_e32 v146, v73, v33
	v_dot4c_i32_i8 v145, v144, v46
	v_cvt_f32_f16_e32 v144, v32
	v_cvt_f32_f16_sdwa v32, v32 dst_sel:DWORD dst_unused:UNUSED_PAD src0_sel:WORD_1
	v_lshlrev_b32_e32 v147, 4, v146
	v_lshlrev_b32_e32 v148, 11, v146
	v_cvt_f32_i32_e32 v145, v145
	v_mul_f32_e32 v144, v8, v144
	v_mul_f32_e32 v32, v9, v32
	v_lshlrev_b32_e32 v149, 18, v146
	v_lshlrev_b32_e32 v146, 25, v146
	v_and_b32_e32 v147, 16, v147
	v_and_b32_e32 v148, 0x1000, v148
	v_mul_f32_e32 v32, 0x3e000000, v32
	v_and_b32_e32 v149, 0x100000, v149
	v_and_b32_e32 v146, 0x10000000, v146
	v_fma_f32 v145, v144, v145, v32
	v_or3_b32 v146, v149, v146, v147
	v_add_f32_e32 v25, v25, v145
	global_load_dword v145, v[22:23], off offset:88
	s_waitcnt vmcnt(0)
	v_and_b32_e32 v145, 0xf0f0f0f, v145
	v_or3_b32 v145, v146, v148, v145
	v_mov_b32_e32 v146, 0
	v_dot4c_i32_i8 v146, v145, v47
	v_cvt_f32_i32_e32 v145, v146
	v_fma_f32 v145, v144, v145, v32
	v_add_f32_e32 v25, v25, v145
	v_ashrrev_i32_e32 v145, v74, v33
	v_lshlrev_b32_e32 v146, 4, v145
	v_lshlrev_b32_e32 v147, 11, v145
	;; [unrolled: 1-line block ×4, first 2 shown]
	v_and_b32_e32 v146, 16, v146
	v_and_b32_e32 v147, 0x1000, v147
	;; [unrolled: 1-line block ×4, first 2 shown]
	v_or3_b32 v24, v145, v24, v148
	v_mov_b32_e32 v145, 0
	v_or3_b32 v24, v24, v146, v147
	v_dot4c_i32_i8 v145, v24, v48
	v_cvt_f32_i32_e32 v24, v145
	v_fma_f32 v24, v144, v24, v32
	v_add_f32_e32 v145, v24, v25
	v_add_co_u32 v24, vcc_lo, v20, v92
	v_add_co_ci_u32_e64 v25, null, 0, v21, vcc_lo
	global_load_dword v24, v[24:25], off offset:80
	v_ashrrev_i32_e32 v25, v93, v33
	v_lshlrev_b32_e32 v33, 4, v25
	v_lshlrev_b32_e32 v146, 11, v25
	;; [unrolled: 1-line block ×4, first 2 shown]
	v_and_b32_e32 v33, 16, v33
	v_and_b32_e32 v146, 0x1000, v146
	v_and_b32_e32 v147, 0x100000, v147
	v_and_b32_e32 v25, 0x10000000, v25
	v_or3_b32 v25, v147, v25, v33
	global_load_dword v33, v[22:23], off offset:104
	s_waitcnt vmcnt(1)
	v_lshrrev_b32_e32 v24, 4, v24
	v_and_b32_e32 v24, 0xf0f0f0f, v24
	v_or3_b32 v24, v25, v146, v24
	v_mov_b32_e32 v25, 0
	v_dot4c_i32_i8 v25, v24, v49
	v_cvt_f32_i32_e32 v24, v25
	v_fmac_f32_e32 v32, v144, v24
	global_load_dwordx2 v[24:25], v[20:21], off offset:96
	s_waitcnt vmcnt(1)
	v_and_b32_e32 v144, 0xf0f0f0f, v33
	v_lshrrev_b32_e32 v33, 4, v33
	v_add_f32_e32 v32, v145, v32
	v_and_b32_e32 v33, 0xf0f0f0f, v33
	s_waitcnt vmcnt(0)
	v_ashrrev_i32_e32 v145, v71, v25
	v_lshlrev_b32_e32 v146, 4, v145
	v_lshlrev_b32_e32 v147, 11, v145
	;; [unrolled: 1-line block ×4, first 2 shown]
	v_and_b32_e32 v146, 16, v146
	v_and_b32_e32 v147, 0x1000, v147
	;; [unrolled: 1-line block ×4, first 2 shown]
	v_or3_b32 v144, v145, v144, v148
	v_mov_b32_e32 v145, 0
	v_or3_b32 v144, v144, v146, v147
	v_ashrrev_i32_e32 v146, v73, v25
	v_dot4c_i32_i8 v145, v144, v50
	v_cvt_f32_f16_e32 v144, v24
	v_cvt_f32_f16_sdwa v24, v24 dst_sel:DWORD dst_unused:UNUSED_PAD src0_sel:WORD_1
	v_lshlrev_b32_e32 v147, 4, v146
	v_lshlrev_b32_e32 v148, 11, v146
	v_cvt_f32_i32_e32 v145, v145
	v_mul_f32_e32 v144, v10, v144
	v_mul_f32_e32 v24, v11, v24
	v_lshlrev_b32_e32 v149, 18, v146
	v_lshlrev_b32_e32 v146, 25, v146
	v_and_b32_e32 v147, 16, v147
	v_and_b32_e32 v148, 0x1000, v148
	v_mul_f32_e32 v24, 0x3e000000, v24
	v_and_b32_e32 v149, 0x100000, v149
	v_and_b32_e32 v146, 0x10000000, v146
	v_fma_f32 v145, v144, v145, v24
	v_or3_b32 v146, v149, v146, v147
	v_add_f32_e32 v32, v32, v145
	global_load_dword v145, v[22:23], off offset:112
	s_waitcnt vmcnt(0)
	v_and_b32_e32 v145, 0xf0f0f0f, v145
	v_or3_b32 v145, v146, v148, v145
	v_mov_b32_e32 v146, 0
	v_dot4c_i32_i8 v146, v145, v51
	v_cvt_f32_i32_e32 v145, v146
	v_fma_f32 v145, v144, v145, v24
	v_add_f32_e32 v32, v32, v145
	v_ashrrev_i32_e32 v145, v74, v25
	v_ashrrev_i32_e32 v25, v96, v25
	v_lshlrev_b32_e32 v146, 4, v145
	v_lshlrev_b32_e32 v147, 11, v145
	;; [unrolled: 1-line block ×4, first 2 shown]
	v_and_b32_e32 v146, 16, v146
	v_and_b32_e32 v147, 0x1000, v147
	;; [unrolled: 1-line block ×4, first 2 shown]
	v_or3_b32 v33, v145, v33, v148
	v_mov_b32_e32 v145, 0
	v_or3_b32 v33, v33, v146, v147
	v_lshlrev_b32_e32 v146, 11, v25
	v_lshlrev_b32_e32 v147, 18, v25
	v_dot4c_i32_i8 v145, v33, v52
	v_and_b32_e32 v146, 0x1000, v146
	v_and_b32_e32 v147, 0x100000, v147
	v_cvt_f32_i32_e32 v33, v145
	v_fma_f32 v33, v144, v33, v24
	v_add_f32_e32 v145, v33, v32
	v_add_co_u32 v32, vcc_lo, v20, v94
	v_add_co_ci_u32_e64 v33, null, 0, v21, vcc_lo
	global_load_dword v32, v[32:33], off offset:104
	v_lshlrev_b32_e32 v33, 4, v25
	v_lshlrev_b32_e32 v25, 25, v25
	v_and_b32_e32 v33, 16, v33
	v_and_b32_e32 v25, 0x10000000, v25
	v_or3_b32 v25, v147, v25, v33
	global_load_dword v33, v[22:23], off offset:128
	s_waitcnt vmcnt(1)
	v_lshrrev_b32_e32 v32, 4, v32
	v_and_b32_e32 v32, 0xf0f0f0f, v32
	v_or3_b32 v25, v25, v146, v32
	v_mov_b32_e32 v32, 0
	v_dot4c_i32_i8 v32, v25, v53
	v_cvt_f32_i32_e32 v25, v32
	v_fmac_f32_e32 v24, v144, v25
	v_add_f32_e32 v32, v145, v24
	global_load_dwordx2 v[24:25], v[20:21], off offset:120
	s_waitcnt vmcnt(1)
	v_and_b32_e32 v144, 0xf0f0f0f, v33
	v_lshrrev_b32_e32 v33, 4, v33
	v_and_b32_e32 v33, 0xf0f0f0f, v33
	s_waitcnt vmcnt(0)
	v_ashrrev_i32_e32 v145, v71, v25
	v_lshlrev_b32_e32 v146, 4, v145
	v_lshlrev_b32_e32 v147, 11, v145
	;; [unrolled: 1-line block ×4, first 2 shown]
	v_and_b32_e32 v146, 16, v146
	v_and_b32_e32 v147, 0x1000, v147
	;; [unrolled: 1-line block ×4, first 2 shown]
	v_or3_b32 v144, v145, v144, v148
	v_mov_b32_e32 v145, 0
	v_or3_b32 v144, v144, v146, v147
	v_ashrrev_i32_e32 v146, v73, v25
	v_dot4c_i32_i8 v145, v144, v54
	v_cvt_f32_f16_e32 v144, v24
	v_cvt_f32_f16_sdwa v24, v24 dst_sel:DWORD dst_unused:UNUSED_PAD src0_sel:WORD_1
	v_lshlrev_b32_e32 v147, 4, v146
	v_lshlrev_b32_e32 v148, 11, v146
	v_cvt_f32_i32_e32 v145, v145
	v_mul_f32_e32 v144, v12, v144
	v_mul_f32_e32 v24, v13, v24
	v_lshlrev_b32_e32 v149, 18, v146
	v_lshlrev_b32_e32 v146, 25, v146
	v_and_b32_e32 v147, 16, v147
	v_and_b32_e32 v148, 0x1000, v148
	v_mul_f32_e32 v24, 0x3e000000, v24
	v_and_b32_e32 v149, 0x100000, v149
	v_and_b32_e32 v146, 0x10000000, v146
	v_fma_f32 v145, v144, v145, v24
	v_or3_b32 v146, v149, v146, v147
	v_add_f32_e32 v32, v32, v145
	global_load_dword v145, v[22:23], off offset:136
	s_waitcnt vmcnt(0)
	v_and_b32_e32 v145, 0xf0f0f0f, v145
	v_or3_b32 v145, v146, v148, v145
	v_mov_b32_e32 v146, 0
	v_dot4c_i32_i8 v146, v145, v55
	v_cvt_f32_i32_e32 v145, v146
	v_fma_f32 v145, v144, v145, v24
	v_add_f32_e32 v32, v32, v145
	v_ashrrev_i32_e32 v145, v74, v25
	v_ashrrev_i32_e32 v25, v98, v25
	v_lshlrev_b32_e32 v146, 4, v145
	v_lshlrev_b32_e32 v147, 11, v145
	;; [unrolled: 1-line block ×4, first 2 shown]
	v_and_b32_e32 v146, 16, v146
	v_and_b32_e32 v147, 0x1000, v147
	;; [unrolled: 1-line block ×4, first 2 shown]
	v_or3_b32 v33, v145, v33, v148
	v_mov_b32_e32 v145, 0
	v_or3_b32 v33, v33, v146, v147
	v_lshlrev_b32_e32 v146, 11, v25
	v_lshlrev_b32_e32 v147, 18, v25
	v_dot4c_i32_i8 v145, v33, v56
	v_and_b32_e32 v146, 0x1000, v146
	v_and_b32_e32 v147, 0x100000, v147
	v_cvt_f32_i32_e32 v33, v145
	v_fma_f32 v33, v144, v33, v24
	v_add_f32_e32 v145, v33, v32
	v_add_co_u32 v32, vcc_lo, v20, v97
	v_add_co_ci_u32_e64 v33, null, 0, v21, vcc_lo
	global_load_dword v32, v[32:33], off offset:128
	v_lshlrev_b32_e32 v33, 4, v25
	v_lshlrev_b32_e32 v25, 25, v25
	v_and_b32_e32 v33, 16, v33
	v_and_b32_e32 v25, 0x10000000, v25
	v_or3_b32 v25, v147, v25, v33
	global_load_dword v33, v[22:23], off offset:152
	s_waitcnt vmcnt(1)
	v_lshrrev_b32_e32 v32, 4, v32
	v_and_b32_e32 v32, 0xf0f0f0f, v32
	v_or3_b32 v25, v25, v146, v32
	v_mov_b32_e32 v32, 0
	v_dot4c_i32_i8 v32, v25, v57
	v_cvt_f32_i32_e32 v25, v32
	v_fmac_f32_e32 v24, v144, v25
	v_add_f32_e32 v32, v145, v24
	global_load_dwordx2 v[24:25], v[20:21], off offset:144
	s_waitcnt vmcnt(1)
	v_and_b32_e32 v144, 0xf0f0f0f, v33
	v_lshrrev_b32_e32 v33, 4, v33
	v_and_b32_e32 v33, 0xf0f0f0f, v33
	s_waitcnt vmcnt(0)
	v_ashrrev_i32_e32 v145, v71, v25
	v_lshlrev_b32_e32 v146, 4, v145
	v_lshlrev_b32_e32 v147, 11, v145
	;; [unrolled: 1-line block ×4, first 2 shown]
	v_and_b32_e32 v146, 16, v146
	v_and_b32_e32 v147, 0x1000, v147
	;; [unrolled: 1-line block ×4, first 2 shown]
	v_or3_b32 v144, v145, v144, v148
	v_mov_b32_e32 v145, 0
	v_or3_b32 v144, v144, v146, v147
	v_ashrrev_i32_e32 v146, v73, v25
	v_dot4c_i32_i8 v145, v144, v58
	v_cvt_f32_f16_e32 v144, v24
	v_cvt_f32_f16_sdwa v24, v24 dst_sel:DWORD dst_unused:UNUSED_PAD src0_sel:WORD_1
	v_lshlrev_b32_e32 v147, 4, v146
	v_lshlrev_b32_e32 v148, 11, v146
	v_cvt_f32_i32_e32 v145, v145
	v_mul_f32_e32 v144, v14, v144
	v_mul_f32_e32 v24, v15, v24
	v_lshlrev_b32_e32 v149, 18, v146
	v_lshlrev_b32_e32 v146, 25, v146
	v_and_b32_e32 v147, 16, v147
	v_and_b32_e32 v148, 0x1000, v148
	v_mul_f32_e32 v24, 0x3e000000, v24
	v_and_b32_e32 v149, 0x100000, v149
	v_and_b32_e32 v146, 0x10000000, v146
	v_fma_f32 v145, v144, v145, v24
	v_or3_b32 v146, v149, v146, v147
	v_add_f32_e32 v32, v32, v145
	global_load_dword v145, v[22:23], off offset:160
	s_waitcnt vmcnt(0)
	v_and_b32_e32 v145, 0xf0f0f0f, v145
	v_or3_b32 v145, v146, v148, v145
	v_mov_b32_e32 v146, 0
	v_dot4c_i32_i8 v146, v145, v59
	v_cvt_f32_i32_e32 v145, v146
	v_fma_f32 v145, v144, v145, v24
	v_add_f32_e32 v32, v32, v145
	v_ashrrev_i32_e32 v145, v74, v25
	v_ashrrev_i32_e32 v25, v101, v25
	v_lshlrev_b32_e32 v146, 4, v145
	v_lshlrev_b32_e32 v147, 11, v145
	;; [unrolled: 1-line block ×4, first 2 shown]
	v_and_b32_e32 v146, 16, v146
	v_and_b32_e32 v147, 0x1000, v147
	;; [unrolled: 1-line block ×4, first 2 shown]
	v_or3_b32 v33, v145, v33, v148
	v_mov_b32_e32 v145, 0
	v_or3_b32 v33, v33, v146, v147
	v_lshlrev_b32_e32 v146, 11, v25
	v_lshlrev_b32_e32 v147, 18, v25
	v_dot4c_i32_i8 v145, v33, v60
	v_and_b32_e32 v146, 0x1000, v146
	v_and_b32_e32 v147, 0x100000, v147
	v_cvt_f32_i32_e32 v33, v145
	v_fma_f32 v33, v144, v33, v24
	v_add_f32_e32 v145, v33, v32
	v_add_co_u32 v32, vcc_lo, v20, v99
	v_add_co_ci_u32_e64 v33, null, 0, v21, vcc_lo
	global_load_dword v32, v[32:33], off offset:152
	v_lshlrev_b32_e32 v33, 4, v25
	v_lshlrev_b32_e32 v25, 25, v25
	v_and_b32_e32 v33, 16, v33
	v_and_b32_e32 v25, 0x10000000, v25
	v_or3_b32 v25, v147, v25, v33
	s_waitcnt vmcnt(0)
	v_lshrrev_b32_e32 v32, 4, v32
	v_and_b32_e32 v32, 0xf0f0f0f, v32
	v_or3_b32 v25, v25, v146, v32
	v_mov_b32_e32 v32, 0
	v_dot4c_i32_i8 v32, v25, v61
	v_cvt_f32_i32_e32 v25, v32
	v_fmac_f32_e32 v24, v144, v25
	global_load_dword v144, v[22:23], off offset:176
	v_add_f32_e32 v33, v145, v24
	s_clause 0x1
	global_load_dwordx2 v[24:25], v[20:21], off offset:168
	global_load_dword v22, v[22:23], off offset:184
	v_add_co_u32 v20, vcc_lo, v20, v102
	v_add_co_ci_u32_e64 v21, null, 0, v21, vcc_lo
	global_load_dword v20, v[20:21], off offset:176
	s_waitcnt vmcnt(3)
	v_and_b32_e32 v32, 0xf0f0f0f, v144
	s_waitcnt vmcnt(2)
	v_ashrrev_i32_e32 v145, v71, v25
	v_ashrrev_i32_e32 v23, v73, v25
	s_waitcnt vmcnt(1)
	v_and_b32_e32 v22, 0xf0f0f0f, v22
	v_ashrrev_i32_e32 v21, v103, v25
	v_lshlrev_b32_e32 v146, 4, v145
	v_lshlrev_b32_e32 v147, 11, v145
	;; [unrolled: 1-line block ×4, first 2 shown]
	s_waitcnt vmcnt(0)
	v_lshrrev_b32_e32 v20, 4, v20
	v_and_b32_e32 v146, 16, v146
	v_and_b32_e32 v147, 0x1000, v147
	;; [unrolled: 1-line block ×5, first 2 shown]
	v_or3_b32 v32, v145, v32, v148
	v_mov_b32_e32 v145, 0
	v_or3_b32 v32, v32, v146, v147
	v_lshlrev_b32_e32 v146, 11, v23
	v_lshlrev_b32_e32 v147, 18, v23
	v_dot4c_i32_i8 v145, v32, v62
	v_cvt_f32_f16_e32 v32, v24
	v_cvt_f32_f16_sdwa v24, v24 dst_sel:DWORD dst_unused:UNUSED_PAD src0_sel:WORD_1
	v_and_b32_e32 v147, 0x100000, v147
	v_and_b32_e32 v146, 0x1000, v146
	v_cvt_f32_i32_e32 v145, v145
	v_mul_f32_e32 v32, v16, v32
	v_mul_f32_e32 v24, v17, v24
	;; [unrolled: 1-line block ×3, first 2 shown]
	v_fma_f32 v145, v32, v145, v24
	v_add_f32_e32 v33, v33, v145
	v_lshlrev_b32_e32 v145, 4, v23
	v_lshlrev_b32_e32 v23, 25, v23
	v_and_b32_e32 v145, 16, v145
	v_and_b32_e32 v23, 0x10000000, v23
	v_or3_b32 v23, v147, v23, v145
	v_or3_b32 v22, v23, v146, v22
	v_mov_b32_e32 v23, 0
	v_dot4c_i32_i8 v23, v22, v63
	v_cvt_f32_i32_e32 v22, v23
	v_lshrrev_b32_e32 v23, 4, v144
	v_fma_f32 v22, v32, v22, v24
	v_and_b32_e32 v23, 0xf0f0f0f, v23
	v_add_f32_e32 v22, v33, v22
	v_ashrrev_i32_e32 v33, v74, v25
	v_lshlrev_b32_e32 v25, 11, v21
	v_lshlrev_b32_e32 v144, 4, v33
	;; [unrolled: 1-line block ×5, first 2 shown]
	v_and_b32_e32 v25, 0x1000, v25
	v_and_b32_e32 v144, 16, v144
	;; [unrolled: 1-line block ×5, first 2 shown]
	v_or3_b32 v23, v33, v23, v146
	v_mov_b32_e32 v33, 0
	v_or3_b32 v23, v23, v144, v145
	v_dot4c_i32_i8 v33, v23, v64
	v_cvt_f32_i32_e32 v23, v33
	v_lshlrev_b32_e32 v33, 18, v21
	v_fma_f32 v23, v32, v23, v24
	v_and_b32_e32 v33, 0x100000, v33
	v_add_f32_e32 v22, v23, v22
	v_lshlrev_b32_e32 v23, 4, v21
	v_lshlrev_b32_e32 v21, 25, v21
	v_and_b32_e32 v23, 16, v23
	v_and_b32_e32 v21, 0x10000000, v21
	v_or3_b32 v21, v33, v21, v23
	v_or3_b32 v20, v21, v25, v20
	v_mov_b32_e32 v21, 0
	v_dot4c_i32_i8 v21, v20, v65
	v_cvt_f32_i32_e32 v20, v21
	v_fmac_f32_e32 v24, v32, v20
	v_add_f32_e32 v20, v22, v24
	ds_bpermute_b32 v21, v133, v20
	s_waitcnt lgkmcnt(0)
	v_add_f32_e32 v20, v20, v21
                                        ; implicit-def: $vgpr21
	v_cmp_ngt_f32_e64 s9, 0x3f200000, |v20|
	s_and_saveexec_b32 s27, s9
	s_xor_b32 s9, exec_lo, s27
	s_cbranch_execz .LBB27_23
; %bb.22:                               ;   in Loop: Header=BB27_15 Depth=1
	v_add_f32_e64 v21, |v20|, |v20|
	v_mul_f32_e32 v22, 0x3fb8aa3b, v21
	v_cmp_ngt_f32_e32 vcc_lo, 0xc2ce8ed0, v21
	v_rndne_f32_e32 v23, v22
	v_fma_f32 v24, 0x3fb8aa3b, v21, -v22
	v_sub_f32_e32 v22, v22, v23
	v_fmac_f32_e32 v24, 0x32a5705f, v21
	v_cvt_i32_f32_e32 v23, v23
	v_add_f32_e32 v22, v22, v24
	v_exp_f32_e32 v22, v22
	v_ldexp_f32 v22, v22, v23
	v_cndmask_b32_e32 v22, 0, v22, vcc_lo
	v_cmp_nlt_f32_e32 vcc_lo, 0x42b17218, v21
	v_cndmask_b32_e32 v21, 0x7f800000, v22, vcc_lo
	v_add_f32_e32 v21, 1.0, v21
	v_rcp_f32_e32 v21, v21
	v_fma_f32 v21, v21, -2.0, 1.0
.LBB27_23:                              ;   in Loop: Header=BB27_15 Depth=1
	s_andn2_saveexec_b32 s9, s9
	s_cbranch_execz .LBB27_25
; %bb.24:                               ;   in Loop: Header=BB27_15 Depth=1
	v_mul_f32_e32 v21, v20, v20
	v_fmaak_f32 v22, s26, v21, 0x3ca908c9
	v_fmaak_f32 v22, v21, v22, 0xbd5c1c4e
	;; [unrolled: 1-line block ×4, first 2 shown]
	v_mul_f32_e64 v22, |v20|, v22
	v_fma_f32 v21, v21, v22, |v20|
.LBB27_25:                              ;   in Loop: Header=BB27_15 Depth=1
	s_or_b32 exec_lo, exec_lo, s9
	v_bfi_b32 v20, 0x7fffffff, v21, v20
	s_andn2_b32 vcc_lo, exec_lo, s14
	v_mul_f32_e32 v20, s37, v20
	s_cbranch_vccnz .LBB27_27
; %bb.26:                               ;   in Loop: Header=BB27_15 Depth=1
	global_load_ushort v18, v[18:19], off offset:2
	s_waitcnt vmcnt(0)
	v_fma_mix_f32 v20, v67, v18, v20 op_sel_hi:[0,1,0]
.LBB27_27:                              ;   in Loop: Header=BB27_15 Depth=1
	v_add_f32_e32 v18, 0x40051340, v31
	v_add_f32_e32 v19, 0x40051340, v20
	v_ashrrev_i32_e32 v145, 31, v75
	v_mul_u32_u24_e32 v147, 34, v80
	s_add_i32 s2, s8, s2
	s_add_u32 s24, s24, s15
	v_max3_f32 v18, v30, v18, v19
	s_addc_u32 s25, s25, 0
	ds_bpermute_b32 v19, v110, v18
	s_waitcnt lgkmcnt(0)
	v_max_f32_e32 v19, v19, v19
	v_max_f32_e32 v18, v18, v19
	ds_bpermute_b32 v19, v111, v18
	s_waitcnt lgkmcnt(0)
	v_max_f32_e32 v19, v19, v19
	v_max_f32_e32 v18, v18, v19
	;; [unrolled: 4-line block ×4, first 2 shown]
	v_cndmask_b32_e64 v18, v20, v31, s1
	v_sub_f32_e32 v19, v30, v144
	v_sub_f32_e32 v18, v18, v144
	v_mul_f32_e32 v20, 0x3fb8aa3b, v19
	v_cmp_ngt_f32_e32 vcc_lo, 0xc2ce8ed0, v19
	v_fma_f32 v21, 0x3fb8aa3b, v19, -v20
	v_rndne_f32_e32 v22, v20
	v_fmac_f32_e32 v21, 0x32a5705f, v19
	v_sub_f32_e32 v20, v20, v22
	v_add_f32_e32 v20, v20, v21
	v_cvt_i32_f32_e32 v21, v22
	v_exp_f32_e32 v20, v20
	v_ldexp_f32 v20, v20, v21
	v_cndmask_b32_e32 v20, 0, v20, vcc_lo
	v_cmp_nlt_f32_e32 vcc_lo, 0x42b17218, v19
	v_cndmask_b32_e32 v19, 0x7f800000, v20, vcc_lo
	v_mul_f32_e32 v20, 0x3fb8aa3b, v18
	v_cmp_ngt_f32_e32 vcc_lo, 0xc2ce8ed0, v18
	v_fma_f32 v21, 0x3fb8aa3b, v18, -v20
	v_rndne_f32_e32 v22, v20
	v_fmac_f32_e32 v21, 0x32a5705f, v18
	v_sub_f32_e32 v20, v20, v22
	v_add_f32_e32 v20, v20, v21
	v_cvt_i32_f32_e32 v21, v22
	v_exp_f32_e32 v20, v20
	v_ldexp_f32 v20, v20, v21
	v_cndmask_b32_e32 v20, 0, v20, vcc_lo
	v_cmp_nlt_f32_e32 vcc_lo, 0x42b17218, v18
	v_cndmask_b32_e32 v18, 0x7f800000, v20, vcc_lo
	v_add_co_u32 v156, vcc_lo, s13, v75
	v_add_co_ci_u32_e64 v157, null, s19, v145, vcc_lo
	v_mul_hi_u32_u24_e32 v145, 34, v80
	v_add_co_u32 v148, vcc_lo, v156, v147
	v_fma_f32 v76, v76, v19, v18
	v_cvt_f16_f32_e32 v19, v19
	v_add_co_ci_u32_e64 v149, null, v157, v145, vcc_lo
	v_add_co_u32 v150, vcc_lo, v148, v81
	v_cvt_f16_f32_e32 v18, v18
	v_mul_u32_u24_sdwa v19, v19, v83 dst_sel:DWORD dst_unused:UNUSED_PAD src0_sel:WORD_0 src1_sel:DWORD
	v_add_co_ci_u32_e64 v151, null, 0, v149, vcc_lo
	ds_write_b16 v69, v18
	v_pk_mul_f16 v146, v26, v19
	v_pk_mul_f16 v152, v27, v19
	;; [unrolled: 1-line block ×4, first 2 shown]
	ds_read_b128 v[30:33], v79
	ds_read_b128 v[26:29], v79 offset:16
	ds_read_b128 v[22:25], v79 offset:32
	;; [unrolled: 1-line block ×3, first 2 shown]
	s_clause 0x1
	global_load_ushort v148, v[148:149], off
	global_load_dword v149, v[150:151], off offset:2
	s_waitcnt lgkmcnt(3)
	v_mul_u32_u24_sdwa v155, v30, v83 dst_sel:DWORD dst_unused:UNUSED_PAD src0_sel:WORD_0 src1_sel:DWORD
	v_mul_u32_u24_sdwa v30, v30, v83 dst_sel:DWORD dst_unused:UNUSED_PAD src0_sel:WORD_1 src1_sel:DWORD
	s_waitcnt vmcnt(1)
	v_mul_u32_u24_e32 v148, 0x10001, v148
	s_waitcnt vmcnt(0)
	v_pk_lshrrev_b16 v150, 8, v149 op_sel:[1,0] op_sel_hi:[0,0]
	v_pk_lshrrev_b16 v149, 8, v149 op_sel:[1,1] op_sel_hi:[0,1]
	v_lshrrev_b32_e32 v151, 16, v150
	v_cvt_f16_i16_sdwa v150, sext(v150) dst_sel:DWORD dst_unused:UNUSED_PAD src0_sel:BYTE_0
	v_cvt_f16_i16_sdwa v151, sext(v151) dst_sel:DWORD dst_unused:UNUSED_PAD src0_sel:BYTE_0
	v_pack_b32_f16 v150, v150, v151
	v_lshrrev_b32_e32 v151, 16, v149
	v_cvt_f16_i16_sdwa v149, sext(v149) dst_sel:DWORD dst_unused:UNUSED_PAD src0_sel:BYTE_0
	v_pk_mul_f16 v150, v150, v148
	v_cvt_f16_i16_sdwa v151, sext(v151) dst_sel:DWORD dst_unused:UNUSED_PAD src0_sel:BYTE_0
	v_pk_fma_f16 v158, v150, v155, v146
	v_pack_b32_f16 v149, v149, v151
	v_mul_hi_u32_u24_e32 v146, 34, v107
	v_pk_mul_f16 v148, v149, v148
	v_pk_fma_f16 v159, v148, v155, v152
	v_mul_u32_u24_e32 v148, 34, v107
	v_add_co_u32 v149, vcc_lo, v156, v148
	v_add_co_ci_u32_e64 v150, null, v157, v146, vcc_lo
	v_add_co_u32 v151, vcc_lo, v149, v108
	v_add_co_ci_u32_e64 v152, null, 0, v150, vcc_lo
	s_clause 0x1
	global_load_ushort v149, v[149:150], off
	global_load_dword v150, v[151:152], off offset:2
	s_waitcnt vmcnt(1)
	v_mul_u32_u24_e32 v149, 0x10001, v149
	s_waitcnt vmcnt(0)
	v_pk_lshrrev_b16 v151, 8, v150 op_sel:[1,0] op_sel_hi:[0,0]
	v_pk_lshrrev_b16 v150, 8, v150 op_sel:[1,1] op_sel_hi:[0,1]
	v_lshrrev_b32_e32 v152, 16, v151
	v_cvt_f16_i16_sdwa v151, sext(v151) dst_sel:DWORD dst_unused:UNUSED_PAD src0_sel:BYTE_0
	v_cvt_f16_i16_sdwa v152, sext(v152) dst_sel:DWORD dst_unused:UNUSED_PAD src0_sel:BYTE_0
	v_pack_b32_f16 v151, v151, v152
	v_lshrrev_b32_e32 v152, 16, v150
	v_cvt_f16_i16_sdwa v150, sext(v150) dst_sel:DWORD dst_unused:UNUSED_PAD src0_sel:BYTE_0
	v_pk_mul_f16 v151, v151, v149
	v_cvt_f16_i16_sdwa v152, sext(v152) dst_sel:DWORD dst_unused:UNUSED_PAD src0_sel:BYTE_0
	v_pk_fma_f16 v153, v151, v155, v153
	v_pack_b32_f16 v150, v150, v152
	v_pk_mul_f16 v149, v150, v149
	v_pk_fma_f16 v154, v149, v155, v154
	v_ashrrev_i32_e32 v149, 31, v77
	v_add_co_u32 v155, vcc_lo, s13, v77
	v_add_co_ci_u32_e64 v156, null, s19, v149, vcc_lo
	v_add_co_u32 v149, vcc_lo, v155, v147
	v_add_co_ci_u32_e64 v150, null, v156, v145, vcc_lo
	;; [unrolled: 2-line block ×3, first 2 shown]
	s_clause 0x1
	global_load_ushort v149, v[149:150], off
	global_load_dword v150, v[151:152], off offset:2
	s_waitcnt vmcnt(1)
	v_mul_u32_u24_e32 v149, 0x10001, v149
	s_waitcnt vmcnt(0)
	v_pk_lshrrev_b16 v151, 8, v150 op_sel:[1,0] op_sel_hi:[0,0]
	v_pk_lshrrev_b16 v150, 8, v150 op_sel:[1,1] op_sel_hi:[0,1]
	v_lshrrev_b32_e32 v152, 16, v151
	v_cvt_f16_i16_sdwa v151, sext(v151) dst_sel:DWORD dst_unused:UNUSED_PAD src0_sel:BYTE_0
	v_cvt_f16_i16_sdwa v152, sext(v152) dst_sel:DWORD dst_unused:UNUSED_PAD src0_sel:BYTE_0
	v_pack_b32_f16 v151, v151, v152
	v_lshrrev_b32_e32 v152, 16, v150
	v_cvt_f16_i16_sdwa v150, sext(v150) dst_sel:DWORD dst_unused:UNUSED_PAD src0_sel:BYTE_0
	v_pk_mul_f16 v151, v151, v149
	v_cvt_f16_i16_sdwa v152, sext(v152) dst_sel:DWORD dst_unused:UNUSED_PAD src0_sel:BYTE_0
	v_pk_fma_f16 v157, v151, v30, v158
	v_pack_b32_f16 v150, v150, v152
	v_pk_mul_f16 v149, v150, v149
	v_pk_fma_f16 v158, v149, v30, v159
	v_add_co_u32 v149, vcc_lo, v155, v148
	v_add_co_ci_u32_e64 v150, null, v156, v146, vcc_lo
	v_add_co_u32 v151, vcc_lo, v149, v108
	v_add_co_ci_u32_e64 v152, null, 0, v150, vcc_lo
	global_load_ushort v149, v[149:150], off
	v_add_co_u32 v155, vcc_lo, s13, v78
	global_load_dword v150, v[151:152], off offset:2
	s_waitcnt vmcnt(1)
	v_mul_u32_u24_e32 v149, 0x10001, v149
	s_waitcnt vmcnt(0)
	v_pk_lshrrev_b16 v151, 8, v150 op_sel:[1,0] op_sel_hi:[0,0]
	v_pk_lshrrev_b16 v150, 8, v150 op_sel:[1,1] op_sel_hi:[0,1]
	v_lshrrev_b32_e32 v152, 16, v151
	v_cvt_f16_i16_sdwa v151, sext(v151) dst_sel:DWORD dst_unused:UNUSED_PAD src0_sel:BYTE_0
	v_cvt_f16_i16_sdwa v152, sext(v152) dst_sel:DWORD dst_unused:UNUSED_PAD src0_sel:BYTE_0
	v_pack_b32_f16 v151, v151, v152
	v_lshrrev_b32_e32 v152, 16, v150
	v_cvt_f16_i16_sdwa v150, sext(v150) dst_sel:DWORD dst_unused:UNUSED_PAD src0_sel:BYTE_0
	v_pk_mul_f16 v151, v151, v149
	v_cvt_f16_i16_sdwa v152, sext(v152) dst_sel:DWORD dst_unused:UNUSED_PAD src0_sel:BYTE_0
	v_pk_fma_f16 v153, v151, v30, v153
	v_pack_b32_f16 v150, v150, v152
	v_pk_mul_f16 v149, v150, v149
	v_pk_fma_f16 v30, v149, v30, v154
	v_ashrrev_i32_e32 v149, 31, v78
	v_mul_u32_u24_sdwa v154, v31, v83 dst_sel:DWORD dst_unused:UNUSED_PAD src0_sel:WORD_0 src1_sel:DWORD
	v_add_co_ci_u32_e64 v156, null, s19, v149, vcc_lo
	v_add_co_u32 v149, vcc_lo, v155, v147
	v_add_co_ci_u32_e64 v150, null, v156, v145, vcc_lo
	v_add_co_u32 v151, vcc_lo, v149, v81
	v_add_co_ci_u32_e64 v152, null, 0, v150, vcc_lo
	s_clause 0x1
	global_load_ushort v149, v[149:150], off
	global_load_dword v150, v[151:152], off offset:2
	s_waitcnt vmcnt(1)
	v_mul_u32_u24_e32 v149, 0x10001, v149
	s_waitcnt vmcnt(0)
	v_pk_lshrrev_b16 v151, 8, v150 op_sel:[1,0] op_sel_hi:[0,0]
	v_pk_lshrrev_b16 v150, 8, v150 op_sel:[1,1] op_sel_hi:[0,1]
	v_lshrrev_b32_e32 v152, 16, v151
	v_cvt_f16_i16_sdwa v151, sext(v151) dst_sel:DWORD dst_unused:UNUSED_PAD src0_sel:BYTE_0
	v_cvt_f16_i16_sdwa v152, sext(v152) dst_sel:DWORD dst_unused:UNUSED_PAD src0_sel:BYTE_0
	v_pack_b32_f16 v151, v151, v152
	v_lshrrev_b32_e32 v152, 16, v150
	v_cvt_f16_i16_sdwa v150, sext(v150) dst_sel:DWORD dst_unused:UNUSED_PAD src0_sel:BYTE_0
	v_pk_mul_f16 v151, v151, v149
	v_cvt_f16_i16_sdwa v152, sext(v152) dst_sel:DWORD dst_unused:UNUSED_PAD src0_sel:BYTE_0
	v_pk_fma_f16 v157, v151, v154, v157
	v_pack_b32_f16 v150, v150, v152
	v_pk_mul_f16 v149, v150, v149
	v_pk_fma_f16 v158, v149, v154, v158
	v_add_co_u32 v149, vcc_lo, v155, v148
	v_add_co_ci_u32_e64 v150, null, v156, v146, vcc_lo
	v_add_co_u32 v151, vcc_lo, v149, v108
	v_add_co_ci_u32_e64 v152, null, 0, v150, vcc_lo
	s_clause 0x1
	global_load_ushort v149, v[149:150], off
	global_load_dword v150, v[151:152], off offset:2
	s_waitcnt vmcnt(1)
	v_mul_u32_u24_e32 v149, 0x10001, v149
	s_waitcnt vmcnt(0)
	v_pk_lshrrev_b16 v151, 8, v150 op_sel:[1,0] op_sel_hi:[0,0]
	v_pk_lshrrev_b16 v150, 8, v150 op_sel:[1,1] op_sel_hi:[0,1]
	v_lshrrev_b32_e32 v152, 16, v151
	v_cvt_f16_i16_sdwa v151, sext(v151) dst_sel:DWORD dst_unused:UNUSED_PAD src0_sel:BYTE_0
	v_cvt_f16_i16_sdwa v152, sext(v152) dst_sel:DWORD dst_unused:UNUSED_PAD src0_sel:BYTE_0
	v_pack_b32_f16 v151, v151, v152
	v_lshrrev_b32_e32 v152, 16, v150
	v_cvt_f16_i16_sdwa v150, sext(v150) dst_sel:DWORD dst_unused:UNUSED_PAD src0_sel:BYTE_0
	v_pk_mul_f16 v151, v151, v149
	v_cvt_f16_i16_sdwa v152, sext(v152) dst_sel:DWORD dst_unused:UNUSED_PAD src0_sel:BYTE_0
	v_pk_fma_f16 v151, v151, v154, v153
	v_pack_b32_f16 v150, v150, v152
	v_mul_u32_u24_sdwa v153, v31, v83 dst_sel:DWORD dst_unused:UNUSED_PAD src0_sel:WORD_1 src1_sel:DWORD
	v_pk_mul_f16 v149, v150, v149
	v_pk_fma_f16 v152, v149, v154, v30
	v_ashrrev_i32_e32 v30, 31, v82
	v_add_co_u32 v154, vcc_lo, s13, v82
	v_add_co_ci_u32_e64 v155, null, s19, v30, vcc_lo
	v_add_co_u32 v30, vcc_lo, v154, v147
	v_add_co_ci_u32_e64 v31, null, v155, v145, vcc_lo
	;; [unrolled: 2-line block ×3, first 2 shown]
	s_clause 0x1
	global_load_ushort v30, v[30:31], off
	global_load_dword v31, v[149:150], off offset:2
	s_waitcnt vmcnt(1)
	v_mul_u32_u24_e32 v30, 0x10001, v30
	s_waitcnt vmcnt(0)
	v_pk_lshrrev_b16 v149, 8, v31 op_sel:[1,0] op_sel_hi:[0,0]
	v_pk_lshrrev_b16 v31, 8, v31 op_sel:[1,1] op_sel_hi:[0,1]
	v_lshrrev_b32_e32 v150, 16, v149
	v_cvt_f16_i16_sdwa v149, sext(v149) dst_sel:DWORD dst_unused:UNUSED_PAD src0_sel:BYTE_0
	v_cvt_f16_i16_sdwa v150, sext(v150) dst_sel:DWORD dst_unused:UNUSED_PAD src0_sel:BYTE_0
	v_pack_b32_f16 v149, v149, v150
	v_lshrrev_b32_e32 v150, 16, v31
	v_cvt_f16_i16_sdwa v31, sext(v31) dst_sel:DWORD dst_unused:UNUSED_PAD src0_sel:BYTE_0
	v_pk_mul_f16 v149, v149, v30
	v_cvt_f16_i16_sdwa v150, sext(v150) dst_sel:DWORD dst_unused:UNUSED_PAD src0_sel:BYTE_0
	v_pk_fma_f16 v156, v149, v153, v157
	v_pack_b32_f16 v31, v31, v150
	v_pk_mul_f16 v30, v31, v30
	v_pk_fma_f16 v157, v30, v153, v158
	v_add_co_u32 v30, vcc_lo, v154, v148
	v_add_co_ci_u32_e64 v31, null, v155, v146, vcc_lo
	v_add_co_u32 v149, vcc_lo, v30, v108
	v_add_co_ci_u32_e64 v150, null, 0, v31, vcc_lo
	global_load_ushort v30, v[30:31], off
	v_add_co_u32 v154, vcc_lo, s13, v84
	global_load_dword v31, v[149:150], off offset:2
	s_waitcnt vmcnt(1)
	v_mul_u32_u24_e32 v30, 0x10001, v30
	s_waitcnt vmcnt(0)
	v_pk_lshrrev_b16 v149, 8, v31 op_sel:[1,0] op_sel_hi:[0,0]
	v_pk_lshrrev_b16 v31, 8, v31 op_sel:[1,1] op_sel_hi:[0,1]
	v_lshrrev_b32_e32 v150, 16, v149
	v_cvt_f16_i16_sdwa v149, sext(v149) dst_sel:DWORD dst_unused:UNUSED_PAD src0_sel:BYTE_0
	v_cvt_f16_i16_sdwa v150, sext(v150) dst_sel:DWORD dst_unused:UNUSED_PAD src0_sel:BYTE_0
	v_pack_b32_f16 v149, v149, v150
	v_lshrrev_b32_e32 v150, 16, v31
	v_cvt_f16_i16_sdwa v31, sext(v31) dst_sel:DWORD dst_unused:UNUSED_PAD src0_sel:BYTE_0
	v_pk_mul_f16 v149, v149, v30
	v_cvt_f16_i16_sdwa v150, sext(v150) dst_sel:DWORD dst_unused:UNUSED_PAD src0_sel:BYTE_0
	v_pk_fma_f16 v151, v149, v153, v151
	v_pack_b32_f16 v31, v31, v150
	v_pk_mul_f16 v30, v31, v30
	v_pk_fma_f16 v152, v30, v153, v152
	v_ashrrev_i32_e32 v30, 31, v84
	v_mul_u32_u24_sdwa v153, v32, v83 dst_sel:DWORD dst_unused:UNUSED_PAD src0_sel:WORD_0 src1_sel:DWORD
	v_mul_u32_u24_sdwa v32, v32, v83 dst_sel:DWORD dst_unused:UNUSED_PAD src0_sel:WORD_1 src1_sel:DWORD
	v_add_co_ci_u32_e64 v155, null, s19, v30, vcc_lo
	v_add_co_u32 v30, vcc_lo, v154, v147
	v_add_co_ci_u32_e64 v31, null, v155, v145, vcc_lo
	v_add_co_u32 v149, vcc_lo, v30, v81
	v_add_co_ci_u32_e64 v150, null, 0, v31, vcc_lo
	s_clause 0x1
	global_load_ushort v30, v[30:31], off
	global_load_dword v31, v[149:150], off offset:2
	s_waitcnt vmcnt(1)
	v_mul_u32_u24_e32 v30, 0x10001, v30
	s_waitcnt vmcnt(0)
	v_pk_lshrrev_b16 v149, 8, v31 op_sel:[1,0] op_sel_hi:[0,0]
	v_pk_lshrrev_b16 v31, 8, v31 op_sel:[1,1] op_sel_hi:[0,1]
	v_lshrrev_b32_e32 v150, 16, v149
	v_cvt_f16_i16_sdwa v149, sext(v149) dst_sel:DWORD dst_unused:UNUSED_PAD src0_sel:BYTE_0
	v_cvt_f16_i16_sdwa v150, sext(v150) dst_sel:DWORD dst_unused:UNUSED_PAD src0_sel:BYTE_0
	v_pack_b32_f16 v149, v149, v150
	v_lshrrev_b32_e32 v150, 16, v31
	v_cvt_f16_i16_sdwa v31, sext(v31) dst_sel:DWORD dst_unused:UNUSED_PAD src0_sel:BYTE_0
	v_pk_mul_f16 v149, v149, v30
	v_cvt_f16_i16_sdwa v150, sext(v150) dst_sel:DWORD dst_unused:UNUSED_PAD src0_sel:BYTE_0
	v_pk_fma_f16 v156, v149, v153, v156
	v_pack_b32_f16 v31, v31, v150
	v_pk_mul_f16 v30, v31, v30
	v_pk_fma_f16 v157, v30, v153, v157
	v_add_co_u32 v30, vcc_lo, v154, v148
	v_add_co_ci_u32_e64 v31, null, v155, v146, vcc_lo
	v_add_co_u32 v149, vcc_lo, v30, v108
	v_add_co_ci_u32_e64 v150, null, 0, v31, vcc_lo
	s_clause 0x1
	global_load_ushort v30, v[30:31], off
	global_load_dword v31, v[149:150], off offset:2
	s_waitcnt vmcnt(1)
	v_mul_u32_u24_e32 v30, 0x10001, v30
	s_waitcnt vmcnt(0)
	v_pk_lshrrev_b16 v149, 8, v31 op_sel:[1,0] op_sel_hi:[0,0]
	v_pk_lshrrev_b16 v31, 8, v31 op_sel:[1,1] op_sel_hi:[0,1]
	v_lshrrev_b32_e32 v150, 16, v149
	v_cvt_f16_i16_sdwa v149, sext(v149) dst_sel:DWORD dst_unused:UNUSED_PAD src0_sel:BYTE_0
	v_cvt_f16_i16_sdwa v150, sext(v150) dst_sel:DWORD dst_unused:UNUSED_PAD src0_sel:BYTE_0
	v_pack_b32_f16 v149, v149, v150
	v_lshrrev_b32_e32 v150, 16, v31
	v_cvt_f16_i16_sdwa v31, sext(v31) dst_sel:DWORD dst_unused:UNUSED_PAD src0_sel:BYTE_0
	v_pk_mul_f16 v149, v149, v30
	v_cvt_f16_i16_sdwa v150, sext(v150) dst_sel:DWORD dst_unused:UNUSED_PAD src0_sel:BYTE_0
	v_pk_fma_f16 v151, v149, v153, v151
	v_pack_b32_f16 v31, v31, v150
	v_pk_mul_f16 v30, v31, v30
	v_pk_fma_f16 v152, v30, v153, v152
	v_ashrrev_i32_e32 v30, 31, v85
	v_add_co_u32 v153, vcc_lo, s13, v85
	v_add_co_ci_u32_e64 v154, null, s19, v30, vcc_lo
	v_add_co_u32 v30, vcc_lo, v153, v147
	v_add_co_ci_u32_e64 v31, null, v154, v145, vcc_lo
	;; [unrolled: 2-line block ×3, first 2 shown]
	s_clause 0x1
	global_load_ushort v30, v[30:31], off
	global_load_dword v31, v[149:150], off offset:2
	s_waitcnt vmcnt(1)
	v_mul_u32_u24_e32 v30, 0x10001, v30
	s_waitcnt vmcnt(0)
	v_pk_lshrrev_b16 v149, 8, v31 op_sel:[1,0] op_sel_hi:[0,0]
	v_pk_lshrrev_b16 v31, 8, v31 op_sel:[1,1] op_sel_hi:[0,1]
	v_lshrrev_b32_e32 v150, 16, v149
	v_cvt_f16_i16_sdwa v149, sext(v149) dst_sel:DWORD dst_unused:UNUSED_PAD src0_sel:BYTE_0
	v_cvt_f16_i16_sdwa v150, sext(v150) dst_sel:DWORD dst_unused:UNUSED_PAD src0_sel:BYTE_0
	v_pack_b32_f16 v149, v149, v150
	v_lshrrev_b32_e32 v150, 16, v31
	v_cvt_f16_i16_sdwa v31, sext(v31) dst_sel:DWORD dst_unused:UNUSED_PAD src0_sel:BYTE_0
	v_pk_mul_f16 v149, v149, v30
	v_cvt_f16_i16_sdwa v150, sext(v150) dst_sel:DWORD dst_unused:UNUSED_PAD src0_sel:BYTE_0
	v_pk_fma_f16 v155, v149, v32, v156
	v_pack_b32_f16 v31, v31, v150
	v_pk_mul_f16 v30, v31, v30
	v_pk_fma_f16 v156, v30, v32, v157
	v_add_co_u32 v30, vcc_lo, v153, v148
	v_add_co_ci_u32_e64 v31, null, v154, v146, vcc_lo
	v_add_co_u32 v149, vcc_lo, v30, v108
	v_add_co_ci_u32_e64 v150, null, 0, v31, vcc_lo
	global_load_ushort v30, v[30:31], off
	v_add_co_u32 v153, vcc_lo, s13, v90
	global_load_dword v31, v[149:150], off offset:2
	s_waitcnt vmcnt(1)
	v_mul_u32_u24_e32 v30, 0x10001, v30
	s_waitcnt vmcnt(0)
	v_pk_lshrrev_b16 v149, 8, v31 op_sel:[1,0] op_sel_hi:[0,0]
	v_pk_lshrrev_b16 v31, 8, v31 op_sel:[1,1] op_sel_hi:[0,1]
	v_lshrrev_b32_e32 v150, 16, v149
	v_cvt_f16_i16_sdwa v149, sext(v149) dst_sel:DWORD dst_unused:UNUSED_PAD src0_sel:BYTE_0
	v_cvt_f16_i16_sdwa v150, sext(v150) dst_sel:DWORD dst_unused:UNUSED_PAD src0_sel:BYTE_0
	v_pack_b32_f16 v149, v149, v150
	v_lshrrev_b32_e32 v150, 16, v31
	v_cvt_f16_i16_sdwa v31, sext(v31) dst_sel:DWORD dst_unused:UNUSED_PAD src0_sel:BYTE_0
	v_pk_mul_f16 v149, v149, v30
	v_cvt_f16_i16_sdwa v150, sext(v150) dst_sel:DWORD dst_unused:UNUSED_PAD src0_sel:BYTE_0
	v_pk_fma_f16 v151, v149, v32, v151
	v_pack_b32_f16 v31, v31, v150
	v_pk_mul_f16 v30, v31, v30
	v_pk_fma_f16 v32, v30, v32, v152
	v_ashrrev_i32_e32 v30, 31, v90
	v_mul_u32_u24_sdwa v152, v33, v83 dst_sel:DWORD dst_unused:UNUSED_PAD src0_sel:WORD_0 src1_sel:DWORD
	v_add_co_ci_u32_e64 v154, null, s19, v30, vcc_lo
	v_add_co_u32 v30, vcc_lo, v153, v147
	v_add_co_ci_u32_e64 v31, null, v154, v145, vcc_lo
	v_add_co_u32 v149, vcc_lo, v30, v81
	v_add_co_ci_u32_e64 v150, null, 0, v31, vcc_lo
	s_clause 0x1
	global_load_ushort v30, v[30:31], off
	global_load_dword v31, v[149:150], off offset:2
	s_waitcnt vmcnt(1)
	v_mul_u32_u24_e32 v30, 0x10001, v30
	s_waitcnt vmcnt(0)
	v_pk_lshrrev_b16 v149, 8, v31 op_sel:[1,0] op_sel_hi:[0,0]
	v_pk_lshrrev_b16 v31, 8, v31 op_sel:[1,1] op_sel_hi:[0,1]
	v_lshrrev_b32_e32 v150, 16, v149
	v_cvt_f16_i16_sdwa v149, sext(v149) dst_sel:DWORD dst_unused:UNUSED_PAD src0_sel:BYTE_0
	v_cvt_f16_i16_sdwa v150, sext(v150) dst_sel:DWORD dst_unused:UNUSED_PAD src0_sel:BYTE_0
	v_pack_b32_f16 v149, v149, v150
	v_lshrrev_b32_e32 v150, 16, v31
	v_cvt_f16_i16_sdwa v31, sext(v31) dst_sel:DWORD dst_unused:UNUSED_PAD src0_sel:BYTE_0
	v_pk_mul_f16 v149, v149, v30
	v_cvt_f16_i16_sdwa v150, sext(v150) dst_sel:DWORD dst_unused:UNUSED_PAD src0_sel:BYTE_0
	v_pk_fma_f16 v155, v149, v152, v155
	v_pack_b32_f16 v31, v31, v150
	v_pk_mul_f16 v30, v31, v30
	v_pk_fma_f16 v156, v30, v152, v156
	v_add_co_u32 v30, vcc_lo, v153, v148
	v_add_co_ci_u32_e64 v31, null, v154, v146, vcc_lo
	v_add_co_u32 v149, vcc_lo, v30, v108
	v_add_co_ci_u32_e64 v150, null, 0, v31, vcc_lo
	s_clause 0x1
	global_load_ushort v30, v[30:31], off
	global_load_dword v31, v[149:150], off offset:2
	s_waitcnt vmcnt(1)
	v_mul_u32_u24_e32 v30, 0x10001, v30
	s_waitcnt vmcnt(0)
	v_pk_lshrrev_b16 v149, 8, v31 op_sel:[1,0] op_sel_hi:[0,0]
	v_pk_lshrrev_b16 v31, 8, v31 op_sel:[1,1] op_sel_hi:[0,1]
	v_lshrrev_b32_e32 v150, 16, v149
	v_cvt_f16_i16_sdwa v149, sext(v149) dst_sel:DWORD dst_unused:UNUSED_PAD src0_sel:BYTE_0
	v_cvt_f16_i16_sdwa v150, sext(v150) dst_sel:DWORD dst_unused:UNUSED_PAD src0_sel:BYTE_0
	v_pack_b32_f16 v149, v149, v150
	v_lshrrev_b32_e32 v150, 16, v31
	v_cvt_f16_i16_sdwa v31, sext(v31) dst_sel:DWORD dst_unused:UNUSED_PAD src0_sel:BYTE_0
	v_pk_mul_f16 v149, v149, v30
	v_cvt_f16_i16_sdwa v150, sext(v150) dst_sel:DWORD dst_unused:UNUSED_PAD src0_sel:BYTE_0
	v_pk_fma_f16 v149, v149, v152, v151
	v_pack_b32_f16 v31, v31, v150
	v_mul_u32_u24_sdwa v151, v33, v83 dst_sel:DWORD dst_unused:UNUSED_PAD src0_sel:WORD_1 src1_sel:DWORD
	v_pk_mul_f16 v30, v31, v30
	v_pk_fma_f16 v150, v30, v152, v32
	v_ashrrev_i32_e32 v30, 31, v95
	v_add_co_u32 v152, vcc_lo, s13, v95
	v_add_co_ci_u32_e64 v153, null, s19, v30, vcc_lo
	v_add_co_u32 v30, vcc_lo, v152, v147
	v_add_co_ci_u32_e64 v31, null, v153, v145, vcc_lo
	;; [unrolled: 2-line block ×3, first 2 shown]
	s_clause 0x1
	global_load_ushort v30, v[30:31], off
	global_load_dword v31, v[32:33], off offset:2
	s_waitcnt vmcnt(1)
	v_mul_u32_u24_e32 v30, 0x10001, v30
	s_waitcnt vmcnt(0)
	v_pk_lshrrev_b16 v32, 8, v31 op_sel:[1,0] op_sel_hi:[0,0]
	v_pk_lshrrev_b16 v31, 8, v31 op_sel:[1,1] op_sel_hi:[0,1]
	v_lshrrev_b32_e32 v33, 16, v32
	v_cvt_f16_i16_sdwa v32, sext(v32) dst_sel:DWORD dst_unused:UNUSED_PAD src0_sel:BYTE_0
	v_cvt_f16_i16_sdwa v33, sext(v33) dst_sel:DWORD dst_unused:UNUSED_PAD src0_sel:BYTE_0
	v_pack_b32_f16 v32, v32, v33
	v_lshrrev_b32_e32 v33, 16, v31
	v_cvt_f16_i16_sdwa v31, sext(v31) dst_sel:DWORD dst_unused:UNUSED_PAD src0_sel:BYTE_0
	v_pk_mul_f16 v32, v32, v30
	v_cvt_f16_i16_sdwa v33, sext(v33) dst_sel:DWORD dst_unused:UNUSED_PAD src0_sel:BYTE_0
	v_pk_fma_f16 v154, v32, v151, v155
	v_pack_b32_f16 v31, v31, v33
	v_pk_mul_f16 v30, v31, v30
	v_pk_fma_f16 v155, v30, v151, v156
	v_add_co_u32 v30, vcc_lo, v152, v148
	v_add_co_ci_u32_e64 v31, null, v153, v146, vcc_lo
	v_add_co_u32 v32, vcc_lo, v30, v108
	v_add_co_ci_u32_e64 v33, null, 0, v31, vcc_lo
	s_clause 0x1
	global_load_ushort v30, v[30:31], off
	global_load_dword v31, v[32:33], off offset:2
	s_waitcnt vmcnt(1)
	v_mul_u32_u24_e32 v30, 0x10001, v30
	s_waitcnt vmcnt(0)
	v_pk_lshrrev_b16 v32, 8, v31 op_sel:[1,0] op_sel_hi:[0,0]
	v_pk_lshrrev_b16 v31, 8, v31 op_sel:[1,1] op_sel_hi:[0,1]
	v_lshrrev_b32_e32 v33, 16, v32
	v_cvt_f16_i16_sdwa v32, sext(v32) dst_sel:DWORD dst_unused:UNUSED_PAD src0_sel:BYTE_0
	v_cvt_f16_i16_sdwa v33, sext(v33) dst_sel:DWORD dst_unused:UNUSED_PAD src0_sel:BYTE_0
	v_pack_b32_f16 v32, v32, v33
	v_lshrrev_b32_e32 v33, 16, v31
	v_cvt_f16_i16_sdwa v31, sext(v31) dst_sel:DWORD dst_unused:UNUSED_PAD src0_sel:BYTE_0
	v_pk_mul_f16 v32, v32, v30
	v_cvt_f16_i16_sdwa v33, sext(v33) dst_sel:DWORD dst_unused:UNUSED_PAD src0_sel:BYTE_0
	v_pack_b32_f16 v31, v31, v33
	v_add_co_u32 v33, vcc_lo, s13, v100
	v_pk_mul_f16 v31, v31, v30
	v_pk_fma_f16 v30, v32, v151, v149
	v_ashrrev_i32_e32 v149, 31, v100
	s_waitcnt lgkmcnt(2)
	v_mul_u32_u24_sdwa v32, v26, v83 dst_sel:DWORD dst_unused:UNUSED_PAD src0_sel:WORD_0 src1_sel:DWORD
	v_mul_u32_u24_sdwa v26, v26, v83 dst_sel:DWORD dst_unused:UNUSED_PAD src0_sel:WORD_1 src1_sel:DWORD
	v_pk_fma_f16 v31, v31, v151, v150
	v_add_co_ci_u32_e64 v153, null, s19, v149, vcc_lo
	v_add_co_u32 v149, vcc_lo, v33, v147
	v_add_co_ci_u32_e64 v150, null, v153, v145, vcc_lo
	v_add_co_u32 v151, vcc_lo, v149, v81
	v_add_co_ci_u32_e64 v152, null, 0, v150, vcc_lo
	s_clause 0x1
	global_load_ushort v149, v[149:150], off
	global_load_dword v150, v[151:152], off offset:2
	s_waitcnt vmcnt(1)
	v_mul_u32_u24_e32 v149, 0x10001, v149
	s_waitcnt vmcnt(0)
	v_pk_lshrrev_b16 v151, 8, v150 op_sel:[1,0] op_sel_hi:[0,0]
	v_pk_lshrrev_b16 v150, 8, v150 op_sel:[1,1] op_sel_hi:[0,1]
	v_lshrrev_b32_e32 v152, 16, v151
	v_cvt_f16_i16_sdwa v151, sext(v151) dst_sel:DWORD dst_unused:UNUSED_PAD src0_sel:BYTE_0
	v_cvt_f16_i16_sdwa v152, sext(v152) dst_sel:DWORD dst_unused:UNUSED_PAD src0_sel:BYTE_0
	v_pack_b32_f16 v151, v151, v152
	v_lshrrev_b32_e32 v152, 16, v150
	v_cvt_f16_i16_sdwa v150, sext(v150) dst_sel:DWORD dst_unused:UNUSED_PAD src0_sel:BYTE_0
	v_pk_mul_f16 v151, v151, v149
	v_cvt_f16_i16_sdwa v152, sext(v152) dst_sel:DWORD dst_unused:UNUSED_PAD src0_sel:BYTE_0
	v_pk_fma_f16 v154, v151, v32, v154
	v_pack_b32_f16 v150, v150, v152
	v_pk_mul_f16 v149, v150, v149
	v_pk_fma_f16 v155, v149, v32, v155
	v_add_co_u32 v149, vcc_lo, v33, v148
	v_add_co_ci_u32_e64 v150, null, v153, v146, vcc_lo
	v_add_co_u32 v151, vcc_lo, v149, v108
	v_add_co_ci_u32_e64 v152, null, 0, v150, vcc_lo
	s_clause 0x1
	global_load_ushort v33, v[149:150], off
	global_load_dword v149, v[151:152], off offset:2
	s_waitcnt vmcnt(1)
	v_mul_u32_u24_e32 v33, 0x10001, v33
	s_waitcnt vmcnt(0)
	v_pk_lshrrev_b16 v150, 8, v149 op_sel:[1,0] op_sel_hi:[0,0]
	v_pk_lshrrev_b16 v149, 8, v149 op_sel:[1,1] op_sel_hi:[0,1]
	v_lshrrev_b32_e32 v151, 16, v150
	v_cvt_f16_i16_sdwa v150, sext(v150) dst_sel:DWORD dst_unused:UNUSED_PAD src0_sel:BYTE_0
	v_cvt_f16_i16_sdwa v151, sext(v151) dst_sel:DWORD dst_unused:UNUSED_PAD src0_sel:BYTE_0
	v_pack_b32_f16 v150, v150, v151
	v_lshrrev_b32_e32 v151, 16, v149
	v_cvt_f16_i16_sdwa v149, sext(v149) dst_sel:DWORD dst_unused:UNUSED_PAD src0_sel:BYTE_0
	v_pk_mul_f16 v150, v150, v33
	v_cvt_f16_i16_sdwa v151, sext(v151) dst_sel:DWORD dst_unused:UNUSED_PAD src0_sel:BYTE_0
	v_pack_b32_f16 v149, v149, v151
	v_add_co_u32 v151, vcc_lo, s13, v104
	v_pk_mul_f16 v33, v149, v33
	v_pk_fma_f16 v149, v150, v32, v30
	v_ashrrev_i32_e32 v30, 31, v104
	v_pk_fma_f16 v150, v33, v32, v31
	v_add_co_ci_u32_e64 v152, null, s19, v30, vcc_lo
	v_add_co_u32 v30, vcc_lo, v151, v147
	v_add_co_ci_u32_e64 v31, null, v152, v145, vcc_lo
	v_add_co_u32 v32, vcc_lo, v30, v81
	v_add_co_ci_u32_e64 v33, null, 0, v31, vcc_lo
	s_clause 0x1
	global_load_ushort v30, v[30:31], off
	global_load_dword v31, v[32:33], off offset:2
	s_waitcnt vmcnt(1)
	v_mul_u32_u24_e32 v30, 0x10001, v30
	s_waitcnt vmcnt(0)
	v_pk_lshrrev_b16 v32, 8, v31 op_sel:[1,0] op_sel_hi:[0,0]
	v_pk_lshrrev_b16 v31, 8, v31 op_sel:[1,1] op_sel_hi:[0,1]
	v_lshrrev_b32_e32 v33, 16, v32
	v_cvt_f16_i16_sdwa v32, sext(v32) dst_sel:DWORD dst_unused:UNUSED_PAD src0_sel:BYTE_0
	v_cvt_f16_i16_sdwa v33, sext(v33) dst_sel:DWORD dst_unused:UNUSED_PAD src0_sel:BYTE_0
	v_pack_b32_f16 v32, v32, v33
	v_lshrrev_b32_e32 v33, 16, v31
	v_cvt_f16_i16_sdwa v31, sext(v31) dst_sel:DWORD dst_unused:UNUSED_PAD src0_sel:BYTE_0
	v_pk_mul_f16 v32, v32, v30
	v_cvt_f16_i16_sdwa v33, sext(v33) dst_sel:DWORD dst_unused:UNUSED_PAD src0_sel:BYTE_0
	v_pk_fma_f16 v153, v32, v26, v154
	v_pack_b32_f16 v31, v31, v33
	v_pk_mul_f16 v30, v31, v30
	v_pk_fma_f16 v154, v30, v26, v155
	v_add_co_u32 v30, vcc_lo, v151, v148
	v_add_co_ci_u32_e64 v31, null, v152, v146, vcc_lo
	v_add_co_u32 v32, vcc_lo, v30, v108
	v_add_co_ci_u32_e64 v33, null, 0, v31, vcc_lo
	global_load_ushort v30, v[30:31], off
	v_add_co_u32 v151, vcc_lo, s13, v105
	global_load_dword v31, v[32:33], off offset:2
	s_waitcnt vmcnt(1)
	v_mul_u32_u24_e32 v30, 0x10001, v30
	s_waitcnt vmcnt(0)
	v_pk_lshrrev_b16 v32, 8, v31 op_sel:[1,0] op_sel_hi:[0,0]
	v_pk_lshrrev_b16 v31, 8, v31 op_sel:[1,1] op_sel_hi:[0,1]
	v_lshrrev_b32_e32 v33, 16, v32
	v_cvt_f16_i16_sdwa v32, sext(v32) dst_sel:DWORD dst_unused:UNUSED_PAD src0_sel:BYTE_0
	v_cvt_f16_i16_sdwa v33, sext(v33) dst_sel:DWORD dst_unused:UNUSED_PAD src0_sel:BYTE_0
	v_pack_b32_f16 v32, v32, v33
	v_lshrrev_b32_e32 v33, 16, v31
	v_cvt_f16_i16_sdwa v31, sext(v31) dst_sel:DWORD dst_unused:UNUSED_PAD src0_sel:BYTE_0
	v_pk_mul_f16 v32, v32, v30
	v_cvt_f16_i16_sdwa v33, sext(v33) dst_sel:DWORD dst_unused:UNUSED_PAD src0_sel:BYTE_0
	v_pk_fma_f16 v149, v32, v26, v149
	v_pack_b32_f16 v31, v31, v33
	v_pk_mul_f16 v30, v31, v30
	v_pk_fma_f16 v26, v30, v26, v150
	v_ashrrev_i32_e32 v30, 31, v105
	v_mul_u32_u24_sdwa v150, v27, v83 dst_sel:DWORD dst_unused:UNUSED_PAD src0_sel:WORD_0 src1_sel:DWORD
	v_add_co_ci_u32_e64 v152, null, s19, v30, vcc_lo
	v_add_co_u32 v30, vcc_lo, v151, v147
	v_add_co_ci_u32_e64 v31, null, v152, v145, vcc_lo
	v_add_co_u32 v32, vcc_lo, v30, v81
	v_add_co_ci_u32_e64 v33, null, 0, v31, vcc_lo
	s_clause 0x1
	global_load_ushort v30, v[30:31], off
	global_load_dword v31, v[32:33], off offset:2
	s_waitcnt vmcnt(1)
	v_mul_u32_u24_e32 v30, 0x10001, v30
	s_waitcnt vmcnt(0)
	v_pk_lshrrev_b16 v32, 8, v31 op_sel:[1,0] op_sel_hi:[0,0]
	v_pk_lshrrev_b16 v31, 8, v31 op_sel:[1,1] op_sel_hi:[0,1]
	v_lshrrev_b32_e32 v33, 16, v32
	v_cvt_f16_i16_sdwa v32, sext(v32) dst_sel:DWORD dst_unused:UNUSED_PAD src0_sel:BYTE_0
	v_cvt_f16_i16_sdwa v33, sext(v33) dst_sel:DWORD dst_unused:UNUSED_PAD src0_sel:BYTE_0
	v_pack_b32_f16 v32, v32, v33
	v_lshrrev_b32_e32 v33, 16, v31
	v_cvt_f16_i16_sdwa v31, sext(v31) dst_sel:DWORD dst_unused:UNUSED_PAD src0_sel:BYTE_0
	v_pk_mul_f16 v32, v32, v30
	v_cvt_f16_i16_sdwa v33, sext(v33) dst_sel:DWORD dst_unused:UNUSED_PAD src0_sel:BYTE_0
	v_pk_fma_f16 v153, v32, v150, v153
	v_pack_b32_f16 v31, v31, v33
	v_pk_mul_f16 v30, v31, v30
	v_pk_fma_f16 v154, v30, v150, v154
	v_add_co_u32 v30, vcc_lo, v151, v148
	v_add_co_ci_u32_e64 v31, null, v152, v146, vcc_lo
	v_add_co_u32 v32, vcc_lo, v30, v108
	v_add_co_ci_u32_e64 v33, null, 0, v31, vcc_lo
	s_clause 0x1
	global_load_ushort v30, v[30:31], off
	global_load_dword v31, v[32:33], off offset:2
	s_waitcnt vmcnt(1)
	v_mul_u32_u24_e32 v30, 0x10001, v30
	s_waitcnt vmcnt(0)
	v_pk_lshrrev_b16 v32, 8, v31 op_sel:[1,0] op_sel_hi:[0,0]
	v_pk_lshrrev_b16 v31, 8, v31 op_sel:[1,1] op_sel_hi:[0,1]
	v_lshrrev_b32_e32 v33, 16, v32
	v_cvt_f16_i16_sdwa v32, sext(v32) dst_sel:DWORD dst_unused:UNUSED_PAD src0_sel:BYTE_0
	v_cvt_f16_i16_sdwa v33, sext(v33) dst_sel:DWORD dst_unused:UNUSED_PAD src0_sel:BYTE_0
	v_pack_b32_f16 v32, v32, v33
	v_lshrrev_b32_e32 v33, 16, v31
	v_cvt_f16_i16_sdwa v31, sext(v31) dst_sel:DWORD dst_unused:UNUSED_PAD src0_sel:BYTE_0
	v_pk_mul_f16 v32, v32, v30
	v_cvt_f16_i16_sdwa v33, sext(v33) dst_sel:DWORD dst_unused:UNUSED_PAD src0_sel:BYTE_0
	v_pk_fma_f16 v32, v32, v150, v149
	v_pack_b32_f16 v31, v31, v33
	v_mul_u32_u24_sdwa v149, v27, v83 dst_sel:DWORD dst_unused:UNUSED_PAD src0_sel:WORD_1 src1_sel:DWORD
	v_pk_mul_f16 v30, v31, v30
	v_pk_fma_f16 v33, v30, v150, v26
	v_ashrrev_i32_e32 v26, 31, v106
	v_add_co_u32 v150, vcc_lo, s13, v106
	v_add_co_ci_u32_e64 v151, null, s19, v26, vcc_lo
	v_add_co_u32 v26, vcc_lo, v150, v147
	v_add_co_ci_u32_e64 v27, null, v151, v145, vcc_lo
	;; [unrolled: 2-line block ×3, first 2 shown]
	s_clause 0x1
	global_load_ushort v26, v[26:27], off
	global_load_dword v27, v[30:31], off offset:2
	s_waitcnt vmcnt(1)
	v_mul_u32_u24_e32 v26, 0x10001, v26
	s_waitcnt vmcnt(0)
	v_pk_lshrrev_b16 v30, 8, v27 op_sel:[1,0] op_sel_hi:[0,0]
	v_pk_lshrrev_b16 v27, 8, v27 op_sel:[1,1] op_sel_hi:[0,1]
	v_lshrrev_b32_e32 v31, 16, v30
	v_cvt_f16_i16_sdwa v30, sext(v30) dst_sel:DWORD dst_unused:UNUSED_PAD src0_sel:BYTE_0
	v_cvt_f16_i16_sdwa v31, sext(v31) dst_sel:DWORD dst_unused:UNUSED_PAD src0_sel:BYTE_0
	v_pack_b32_f16 v30, v30, v31
	v_lshrrev_b32_e32 v31, 16, v27
	v_cvt_f16_i16_sdwa v27, sext(v27) dst_sel:DWORD dst_unused:UNUSED_PAD src0_sel:BYTE_0
	v_pk_mul_f16 v30, v30, v26
	v_cvt_f16_i16_sdwa v31, sext(v31) dst_sel:DWORD dst_unused:UNUSED_PAD src0_sel:BYTE_0
	v_pk_fma_f16 v152, v30, v149, v153
	v_pack_b32_f16 v27, v27, v31
	v_pk_mul_f16 v26, v27, v26
	v_pk_fma_f16 v153, v26, v149, v154
	v_add_co_u32 v26, vcc_lo, v150, v148
	v_add_co_ci_u32_e64 v27, null, v151, v146, vcc_lo
	v_add_co_u32 v30, vcc_lo, v26, v108
	v_add_co_ci_u32_e64 v31, null, 0, v27, vcc_lo
	global_load_ushort v26, v[26:27], off
	v_add_co_u32 v150, vcc_lo, s13, v109
	global_load_dword v27, v[30:31], off offset:2
	s_waitcnt vmcnt(1)
	v_mul_u32_u24_e32 v26, 0x10001, v26
	s_waitcnt vmcnt(0)
	v_pk_lshrrev_b16 v30, 8, v27 op_sel:[1,0] op_sel_hi:[0,0]
	v_pk_lshrrev_b16 v27, 8, v27 op_sel:[1,1] op_sel_hi:[0,1]
	v_lshrrev_b32_e32 v31, 16, v30
	v_cvt_f16_i16_sdwa v30, sext(v30) dst_sel:DWORD dst_unused:UNUSED_PAD src0_sel:BYTE_0
	v_cvt_f16_i16_sdwa v31, sext(v31) dst_sel:DWORD dst_unused:UNUSED_PAD src0_sel:BYTE_0
	v_pack_b32_f16 v30, v30, v31
	v_lshrrev_b32_e32 v31, 16, v27
	v_cvt_f16_i16_sdwa v27, sext(v27) dst_sel:DWORD dst_unused:UNUSED_PAD src0_sel:BYTE_0
	v_pk_mul_f16 v30, v30, v26
	v_cvt_f16_i16_sdwa v31, sext(v31) dst_sel:DWORD dst_unused:UNUSED_PAD src0_sel:BYTE_0
	v_pk_fma_f16 v32, v30, v149, v32
	v_pack_b32_f16 v27, v27, v31
	v_pk_mul_f16 v26, v27, v26
	v_pk_fma_f16 v33, v26, v149, v33
	v_ashrrev_i32_e32 v26, 31, v109
	v_mul_u32_u24_sdwa v149, v28, v83 dst_sel:DWORD dst_unused:UNUSED_PAD src0_sel:WORD_0 src1_sel:DWORD
	v_mul_u32_u24_sdwa v28, v28, v83 dst_sel:DWORD dst_unused:UNUSED_PAD src0_sel:WORD_1 src1_sel:DWORD
	v_add_co_ci_u32_e64 v151, null, s19, v26, vcc_lo
	v_add_co_u32 v26, vcc_lo, v150, v147
	v_add_co_ci_u32_e64 v27, null, v151, v145, vcc_lo
	v_add_co_u32 v30, vcc_lo, v26, v81
	v_add_co_ci_u32_e64 v31, null, 0, v27, vcc_lo
	s_clause 0x1
	global_load_ushort v26, v[26:27], off
	global_load_dword v27, v[30:31], off offset:2
	s_waitcnt vmcnt(1)
	v_mul_u32_u24_e32 v26, 0x10001, v26
	s_waitcnt vmcnt(0)
	v_pk_lshrrev_b16 v30, 8, v27 op_sel:[1,0] op_sel_hi:[0,0]
	v_pk_lshrrev_b16 v27, 8, v27 op_sel:[1,1] op_sel_hi:[0,1]
	v_lshrrev_b32_e32 v31, 16, v30
	v_cvt_f16_i16_sdwa v30, sext(v30) dst_sel:DWORD dst_unused:UNUSED_PAD src0_sel:BYTE_0
	v_cvt_f16_i16_sdwa v31, sext(v31) dst_sel:DWORD dst_unused:UNUSED_PAD src0_sel:BYTE_0
	v_pack_b32_f16 v30, v30, v31
	v_lshrrev_b32_e32 v31, 16, v27
	v_cvt_f16_i16_sdwa v27, sext(v27) dst_sel:DWORD dst_unused:UNUSED_PAD src0_sel:BYTE_0
	v_pk_mul_f16 v30, v30, v26
	v_cvt_f16_i16_sdwa v31, sext(v31) dst_sel:DWORD dst_unused:UNUSED_PAD src0_sel:BYTE_0
	v_pk_fma_f16 v152, v30, v149, v152
	v_pack_b32_f16 v27, v27, v31
	v_pk_mul_f16 v26, v27, v26
	v_pk_fma_f16 v153, v26, v149, v153
	v_add_co_u32 v26, vcc_lo, v150, v148
	v_add_co_ci_u32_e64 v27, null, v151, v146, vcc_lo
	v_add_co_u32 v30, vcc_lo, v26, v108
	v_add_co_ci_u32_e64 v31, null, 0, v27, vcc_lo
	s_clause 0x1
	global_load_ushort v26, v[26:27], off
	global_load_dword v27, v[30:31], off offset:2
	s_waitcnt vmcnt(1)
	v_mul_u32_u24_e32 v26, 0x10001, v26
	s_waitcnt vmcnt(0)
	v_pk_lshrrev_b16 v30, 8, v27 op_sel:[1,0] op_sel_hi:[0,0]
	v_pk_lshrrev_b16 v27, 8, v27 op_sel:[1,1] op_sel_hi:[0,1]
	v_lshrrev_b32_e32 v31, 16, v30
	v_cvt_f16_i16_sdwa v30, sext(v30) dst_sel:DWORD dst_unused:UNUSED_PAD src0_sel:BYTE_0
	v_cvt_f16_i16_sdwa v31, sext(v31) dst_sel:DWORD dst_unused:UNUSED_PAD src0_sel:BYTE_0
	v_pack_b32_f16 v30, v30, v31
	v_lshrrev_b32_e32 v31, 16, v27
	v_cvt_f16_i16_sdwa v27, sext(v27) dst_sel:DWORD dst_unused:UNUSED_PAD src0_sel:BYTE_0
	v_pk_mul_f16 v30, v30, v26
	v_cvt_f16_i16_sdwa v31, sext(v31) dst_sel:DWORD dst_unused:UNUSED_PAD src0_sel:BYTE_0
	v_pk_fma_f16 v32, v30, v149, v32
	v_pack_b32_f16 v27, v27, v31
	v_pk_mul_f16 v26, v27, v26
	v_pk_fma_f16 v33, v26, v149, v33
	v_ashrrev_i32_e32 v26, 31, v112
	v_add_co_u32 v149, vcc_lo, s13, v112
	v_add_co_ci_u32_e64 v150, null, s19, v26, vcc_lo
	v_add_co_u32 v26, vcc_lo, v149, v147
	v_add_co_ci_u32_e64 v27, null, v150, v145, vcc_lo
	;; [unrolled: 2-line block ×3, first 2 shown]
	s_clause 0x1
	global_load_ushort v26, v[26:27], off
	global_load_dword v27, v[30:31], off offset:2
	s_waitcnt vmcnt(1)
	v_mul_u32_u24_e32 v26, 0x10001, v26
	s_waitcnt vmcnt(0)
	v_pk_lshrrev_b16 v30, 8, v27 op_sel:[1,0] op_sel_hi:[0,0]
	v_pk_lshrrev_b16 v27, 8, v27 op_sel:[1,1] op_sel_hi:[0,1]
	v_lshrrev_b32_e32 v31, 16, v30
	v_cvt_f16_i16_sdwa v30, sext(v30) dst_sel:DWORD dst_unused:UNUSED_PAD src0_sel:BYTE_0
	v_cvt_f16_i16_sdwa v31, sext(v31) dst_sel:DWORD dst_unused:UNUSED_PAD src0_sel:BYTE_0
	v_pack_b32_f16 v30, v30, v31
	v_lshrrev_b32_e32 v31, 16, v27
	v_cvt_f16_i16_sdwa v27, sext(v27) dst_sel:DWORD dst_unused:UNUSED_PAD src0_sel:BYTE_0
	v_pk_mul_f16 v30, v30, v26
	v_cvt_f16_i16_sdwa v31, sext(v31) dst_sel:DWORD dst_unused:UNUSED_PAD src0_sel:BYTE_0
	v_pk_fma_f16 v151, v30, v28, v152
	v_pack_b32_f16 v27, v27, v31
	v_pk_mul_f16 v26, v27, v26
	v_pk_fma_f16 v152, v26, v28, v153
	v_add_co_u32 v26, vcc_lo, v149, v148
	v_add_co_ci_u32_e64 v27, null, v150, v146, vcc_lo
	v_add_co_u32 v30, vcc_lo, v26, v108
	v_add_co_ci_u32_e64 v31, null, 0, v27, vcc_lo
	global_load_ushort v26, v[26:27], off
	v_add_co_u32 v149, vcc_lo, s13, v114
	global_load_dword v27, v[30:31], off offset:2
	s_waitcnt vmcnt(1)
	v_mul_u32_u24_e32 v26, 0x10001, v26
	s_waitcnt vmcnt(0)
	v_pk_lshrrev_b16 v30, 8, v27 op_sel:[1,0] op_sel_hi:[0,0]
	v_pk_lshrrev_b16 v27, 8, v27 op_sel:[1,1] op_sel_hi:[0,1]
	v_lshrrev_b32_e32 v31, 16, v30
	v_cvt_f16_i16_sdwa v30, sext(v30) dst_sel:DWORD dst_unused:UNUSED_PAD src0_sel:BYTE_0
	v_cvt_f16_i16_sdwa v31, sext(v31) dst_sel:DWORD dst_unused:UNUSED_PAD src0_sel:BYTE_0
	v_pack_b32_f16 v30, v30, v31
	v_lshrrev_b32_e32 v31, 16, v27
	v_cvt_f16_i16_sdwa v27, sext(v27) dst_sel:DWORD dst_unused:UNUSED_PAD src0_sel:BYTE_0
	v_pk_mul_f16 v30, v30, v26
	v_cvt_f16_i16_sdwa v31, sext(v31) dst_sel:DWORD dst_unused:UNUSED_PAD src0_sel:BYTE_0
	v_pk_fma_f16 v32, v30, v28, v32
	v_pack_b32_f16 v27, v27, v31
	v_pk_mul_f16 v26, v27, v26
	v_pk_fma_f16 v28, v26, v28, v33
	v_ashrrev_i32_e32 v26, 31, v114
	v_mul_u32_u24_sdwa v33, v29, v83 dst_sel:DWORD dst_unused:UNUSED_PAD src0_sel:WORD_0 src1_sel:DWORD
	v_add_co_ci_u32_e64 v150, null, s19, v26, vcc_lo
	v_add_co_u32 v26, vcc_lo, v149, v147
	v_add_co_ci_u32_e64 v27, null, v150, v145, vcc_lo
	v_add_co_u32 v30, vcc_lo, v26, v81
	v_add_co_ci_u32_e64 v31, null, 0, v27, vcc_lo
	s_clause 0x1
	global_load_ushort v26, v[26:27], off
	global_load_dword v27, v[30:31], off offset:2
	s_waitcnt vmcnt(1)
	v_mul_u32_u24_e32 v26, 0x10001, v26
	s_waitcnt vmcnt(0)
	v_pk_lshrrev_b16 v30, 8, v27 op_sel:[1,0] op_sel_hi:[0,0]
	v_pk_lshrrev_b16 v27, 8, v27 op_sel:[1,1] op_sel_hi:[0,1]
	v_lshrrev_b32_e32 v31, 16, v30
	v_cvt_f16_i16_sdwa v30, sext(v30) dst_sel:DWORD dst_unused:UNUSED_PAD src0_sel:BYTE_0
	v_cvt_f16_i16_sdwa v31, sext(v31) dst_sel:DWORD dst_unused:UNUSED_PAD src0_sel:BYTE_0
	v_pack_b32_f16 v30, v30, v31
	v_lshrrev_b32_e32 v31, 16, v27
	v_cvt_f16_i16_sdwa v27, sext(v27) dst_sel:DWORD dst_unused:UNUSED_PAD src0_sel:BYTE_0
	v_pk_mul_f16 v30, v30, v26
	v_cvt_f16_i16_sdwa v31, sext(v31) dst_sel:DWORD dst_unused:UNUSED_PAD src0_sel:BYTE_0
	v_pk_fma_f16 v151, v30, v33, v151
	v_pack_b32_f16 v27, v27, v31
	v_pk_mul_f16 v26, v27, v26
	v_pk_fma_f16 v152, v26, v33, v152
	v_add_co_u32 v26, vcc_lo, v149, v148
	v_add_co_ci_u32_e64 v27, null, v150, v146, vcc_lo
	v_add_co_u32 v30, vcc_lo, v26, v108
	v_add_co_ci_u32_e64 v31, null, 0, v27, vcc_lo
	s_clause 0x1
	global_load_ushort v26, v[26:27], off
	global_load_dword v27, v[30:31], off offset:2
	s_waitcnt vmcnt(1)
	v_mul_u32_u24_e32 v26, 0x10001, v26
	s_waitcnt vmcnt(0)
	v_pk_lshrrev_b16 v30, 8, v27 op_sel:[1,0] op_sel_hi:[0,0]
	v_pk_lshrrev_b16 v27, 8, v27 op_sel:[1,1] op_sel_hi:[0,1]
	v_lshrrev_b32_e32 v31, 16, v30
	v_cvt_f16_i16_sdwa v30, sext(v30) dst_sel:DWORD dst_unused:UNUSED_PAD src0_sel:BYTE_0
	v_cvt_f16_i16_sdwa v31, sext(v31) dst_sel:DWORD dst_unused:UNUSED_PAD src0_sel:BYTE_0
	v_pack_b32_f16 v30, v30, v31
	v_lshrrev_b32_e32 v31, 16, v27
	v_cvt_f16_i16_sdwa v27, sext(v27) dst_sel:DWORD dst_unused:UNUSED_PAD src0_sel:BYTE_0
	v_pk_mul_f16 v30, v30, v26
	v_cvt_f16_i16_sdwa v31, sext(v31) dst_sel:DWORD dst_unused:UNUSED_PAD src0_sel:BYTE_0
	v_pk_fma_f16 v30, v30, v33, v32
	v_pack_b32_f16 v27, v27, v31
	v_mul_u32_u24_sdwa v32, v29, v83 dst_sel:DWORD dst_unused:UNUSED_PAD src0_sel:WORD_1 src1_sel:DWORD
	v_pk_mul_f16 v26, v27, v26
	v_pk_fma_f16 v31, v26, v33, v28
	v_ashrrev_i32_e32 v26, 31, v115
	v_add_co_u32 v33, vcc_lo, s13, v115
	v_add_co_ci_u32_e64 v149, null, s19, v26, vcc_lo
	v_add_co_u32 v26, vcc_lo, v33, v147
	v_add_co_ci_u32_e64 v27, null, v149, v145, vcc_lo
	;; [unrolled: 2-line block ×3, first 2 shown]
	s_clause 0x1
	global_load_ushort v26, v[26:27], off
	global_load_dword v27, v[28:29], off offset:2
	s_waitcnt vmcnt(1)
	v_mul_u32_u24_e32 v26, 0x10001, v26
	s_waitcnt vmcnt(0)
	v_pk_lshrrev_b16 v28, 8, v27 op_sel:[1,0] op_sel_hi:[0,0]
	v_pk_lshrrev_b16 v27, 8, v27 op_sel:[1,1] op_sel_hi:[0,1]
	v_lshrrev_b32_e32 v29, 16, v28
	v_cvt_f16_i16_sdwa v28, sext(v28) dst_sel:DWORD dst_unused:UNUSED_PAD src0_sel:BYTE_0
	v_cvt_f16_i16_sdwa v29, sext(v29) dst_sel:DWORD dst_unused:UNUSED_PAD src0_sel:BYTE_0
	v_pack_b32_f16 v28, v28, v29
	v_lshrrev_b32_e32 v29, 16, v27
	v_cvt_f16_i16_sdwa v27, sext(v27) dst_sel:DWORD dst_unused:UNUSED_PAD src0_sel:BYTE_0
	v_pk_mul_f16 v28, v28, v26
	v_cvt_f16_i16_sdwa v29, sext(v29) dst_sel:DWORD dst_unused:UNUSED_PAD src0_sel:BYTE_0
	v_pk_fma_f16 v150, v28, v32, v151
	v_pack_b32_f16 v27, v27, v29
	v_pk_mul_f16 v26, v27, v26
	v_pk_fma_f16 v151, v26, v32, v152
	v_add_co_u32 v26, vcc_lo, v33, v148
	v_add_co_ci_u32_e64 v27, null, v149, v146, vcc_lo
	v_add_co_u32 v28, vcc_lo, v26, v108
	v_add_co_ci_u32_e64 v29, null, 0, v27, vcc_lo
	global_load_ushort v26, v[26:27], off
	v_add_co_u32 v33, vcc_lo, s13, v116
	global_load_dword v27, v[28:29], off offset:2
	s_waitcnt vmcnt(1)
	v_mul_u32_u24_e32 v26, 0x10001, v26
	s_waitcnt vmcnt(0)
	v_pk_lshrrev_b16 v28, 8, v27 op_sel:[1,0] op_sel_hi:[0,0]
	v_pk_lshrrev_b16 v27, 8, v27 op_sel:[1,1] op_sel_hi:[0,1]
	v_lshrrev_b32_e32 v29, 16, v28
	v_cvt_f16_i16_sdwa v28, sext(v28) dst_sel:DWORD dst_unused:UNUSED_PAD src0_sel:BYTE_0
	v_cvt_f16_i16_sdwa v29, sext(v29) dst_sel:DWORD dst_unused:UNUSED_PAD src0_sel:BYTE_0
	v_pack_b32_f16 v28, v28, v29
	v_lshrrev_b32_e32 v29, 16, v27
	v_cvt_f16_i16_sdwa v27, sext(v27) dst_sel:DWORD dst_unused:UNUSED_PAD src0_sel:BYTE_0
	v_pk_mul_f16 v28, v28, v26
	v_cvt_f16_i16_sdwa v29, sext(v29) dst_sel:DWORD dst_unused:UNUSED_PAD src0_sel:BYTE_0
	v_pk_fma_f16 v30, v28, v32, v30
	v_pack_b32_f16 v27, v27, v29
	v_pk_mul_f16 v26, v27, v26
	v_pk_fma_f16 v31, v26, v32, v31
	v_ashrrev_i32_e32 v26, 31, v116
	s_waitcnt lgkmcnt(1)
	v_mul_u32_u24_sdwa v32, v22, v83 dst_sel:DWORD dst_unused:UNUSED_PAD src0_sel:WORD_0 src1_sel:DWORD
	v_mul_u32_u24_sdwa v22, v22, v83 dst_sel:DWORD dst_unused:UNUSED_PAD src0_sel:WORD_1 src1_sel:DWORD
	v_add_co_ci_u32_e64 v149, null, s19, v26, vcc_lo
	v_add_co_u32 v26, vcc_lo, v33, v147
	v_add_co_ci_u32_e64 v27, null, v149, v145, vcc_lo
	v_add_co_u32 v28, vcc_lo, v26, v81
	v_add_co_ci_u32_e64 v29, null, 0, v27, vcc_lo
	s_clause 0x1
	global_load_ushort v26, v[26:27], off
	global_load_dword v27, v[28:29], off offset:2
	s_waitcnt vmcnt(1)
	v_mul_u32_u24_e32 v26, 0x10001, v26
	s_waitcnt vmcnt(0)
	v_pk_lshrrev_b16 v28, 8, v27 op_sel:[1,0] op_sel_hi:[0,0]
	v_pk_lshrrev_b16 v27, 8, v27 op_sel:[1,1] op_sel_hi:[0,1]
	v_lshrrev_b32_e32 v29, 16, v28
	v_cvt_f16_i16_sdwa v28, sext(v28) dst_sel:DWORD dst_unused:UNUSED_PAD src0_sel:BYTE_0
	v_cvt_f16_i16_sdwa v29, sext(v29) dst_sel:DWORD dst_unused:UNUSED_PAD src0_sel:BYTE_0
	v_pack_b32_f16 v28, v28, v29
	v_lshrrev_b32_e32 v29, 16, v27
	v_cvt_f16_i16_sdwa v27, sext(v27) dst_sel:DWORD dst_unused:UNUSED_PAD src0_sel:BYTE_0
	v_pk_mul_f16 v28, v28, v26
	v_cvt_f16_i16_sdwa v29, sext(v29) dst_sel:DWORD dst_unused:UNUSED_PAD src0_sel:BYTE_0
	v_pk_fma_f16 v150, v28, v32, v150
	v_pack_b32_f16 v27, v27, v29
	v_pk_mul_f16 v26, v27, v26
	v_pk_fma_f16 v151, v26, v32, v151
	v_add_co_u32 v26, vcc_lo, v33, v148
	v_add_co_ci_u32_e64 v27, null, v149, v146, vcc_lo
	v_add_co_u32 v28, vcc_lo, v26, v108
	v_add_co_ci_u32_e64 v29, null, 0, v27, vcc_lo
	s_clause 0x1
	global_load_ushort v26, v[26:27], off
	global_load_dword v27, v[28:29], off offset:2
	s_waitcnt vmcnt(1)
	v_mul_u32_u24_e32 v26, 0x10001, v26
	s_waitcnt vmcnt(0)
	v_pk_lshrrev_b16 v28, 8, v27 op_sel:[1,0] op_sel_hi:[0,0]
	v_pk_lshrrev_b16 v27, 8, v27 op_sel:[1,1] op_sel_hi:[0,1]
	v_lshrrev_b32_e32 v29, 16, v28
	v_cvt_f16_i16_sdwa v28, sext(v28) dst_sel:DWORD dst_unused:UNUSED_PAD src0_sel:BYTE_0
	v_cvt_f16_i16_sdwa v29, sext(v29) dst_sel:DWORD dst_unused:UNUSED_PAD src0_sel:BYTE_0
	v_pack_b32_f16 v28, v28, v29
	v_lshrrev_b32_e32 v29, 16, v27
	v_cvt_f16_i16_sdwa v27, sext(v27) dst_sel:DWORD dst_unused:UNUSED_PAD src0_sel:BYTE_0
	v_pk_mul_f16 v28, v28, v26
	v_cvt_f16_i16_sdwa v29, sext(v29) dst_sel:DWORD dst_unused:UNUSED_PAD src0_sel:BYTE_0
	v_pk_fma_f16 v30, v28, v32, v30
	v_pack_b32_f16 v27, v27, v29
	v_pk_mul_f16 v26, v27, v26
	v_pk_fma_f16 v31, v26, v32, v31
	v_ashrrev_i32_e32 v26, 31, v117
	v_add_co_u32 v32, vcc_lo, s13, v117
	v_add_co_ci_u32_e64 v33, null, s19, v26, vcc_lo
	v_add_co_u32 v26, vcc_lo, v32, v147
	v_add_co_ci_u32_e64 v27, null, v33, v145, vcc_lo
	v_add_co_u32 v28, vcc_lo, v26, v81
	v_add_co_ci_u32_e64 v29, null, 0, v27, vcc_lo
	s_clause 0x1
	global_load_ushort v26, v[26:27], off
	global_load_dword v27, v[28:29], off offset:2
	s_waitcnt vmcnt(1)
	v_mul_u32_u24_e32 v26, 0x10001, v26
	s_waitcnt vmcnt(0)
	v_pk_lshrrev_b16 v28, 8, v27 op_sel:[1,0] op_sel_hi:[0,0]
	v_pk_lshrrev_b16 v27, 8, v27 op_sel:[1,1] op_sel_hi:[0,1]
	v_lshrrev_b32_e32 v29, 16, v28
	v_cvt_f16_i16_sdwa v28, sext(v28) dst_sel:DWORD dst_unused:UNUSED_PAD src0_sel:BYTE_0
	v_cvt_f16_i16_sdwa v29, sext(v29) dst_sel:DWORD dst_unused:UNUSED_PAD src0_sel:BYTE_0
	v_pack_b32_f16 v28, v28, v29
	v_lshrrev_b32_e32 v29, 16, v27
	v_cvt_f16_i16_sdwa v27, sext(v27) dst_sel:DWORD dst_unused:UNUSED_PAD src0_sel:BYTE_0
	v_pk_mul_f16 v28, v28, v26
	v_cvt_f16_i16_sdwa v29, sext(v29) dst_sel:DWORD dst_unused:UNUSED_PAD src0_sel:BYTE_0
	v_pk_fma_f16 v149, v28, v22, v150
	v_pack_b32_f16 v27, v27, v29
	v_pk_mul_f16 v26, v27, v26
	v_pk_fma_f16 v150, v26, v22, v151
	v_add_co_u32 v26, vcc_lo, v32, v148
	v_add_co_ci_u32_e64 v27, null, v33, v146, vcc_lo
	v_add_co_u32 v28, vcc_lo, v26, v108
	v_add_co_ci_u32_e64 v29, null, 0, v27, vcc_lo
	global_load_ushort v26, v[26:27], off
	v_add_co_u32 v32, vcc_lo, s13, v118
	global_load_dword v27, v[28:29], off offset:2
	s_waitcnt vmcnt(1)
	v_mul_u32_u24_e32 v26, 0x10001, v26
	s_waitcnt vmcnt(0)
	v_pk_lshrrev_b16 v28, 8, v27 op_sel:[1,0] op_sel_hi:[0,0]
	v_pk_lshrrev_b16 v27, 8, v27 op_sel:[1,1] op_sel_hi:[0,1]
	v_lshrrev_b32_e32 v29, 16, v28
	v_cvt_f16_i16_sdwa v28, sext(v28) dst_sel:DWORD dst_unused:UNUSED_PAD src0_sel:BYTE_0
	v_cvt_f16_i16_sdwa v29, sext(v29) dst_sel:DWORD dst_unused:UNUSED_PAD src0_sel:BYTE_0
	v_pack_b32_f16 v28, v28, v29
	v_lshrrev_b32_e32 v29, 16, v27
	v_cvt_f16_i16_sdwa v27, sext(v27) dst_sel:DWORD dst_unused:UNUSED_PAD src0_sel:BYTE_0
	v_pk_mul_f16 v28, v28, v26
	v_cvt_f16_i16_sdwa v29, sext(v29) dst_sel:DWORD dst_unused:UNUSED_PAD src0_sel:BYTE_0
	v_pk_fma_f16 v30, v28, v22, v30
	v_pack_b32_f16 v27, v27, v29
	v_pk_mul_f16 v26, v27, v26
	v_pk_fma_f16 v22, v26, v22, v31
	v_ashrrev_i32_e32 v26, 31, v118
	v_mul_u32_u24_sdwa v31, v23, v83 dst_sel:DWORD dst_unused:UNUSED_PAD src0_sel:WORD_0 src1_sel:DWORD
	v_add_co_ci_u32_e64 v33, null, s19, v26, vcc_lo
	v_add_co_u32 v26, vcc_lo, v32, v147
	v_add_co_ci_u32_e64 v27, null, v33, v145, vcc_lo
	v_add_co_u32 v28, vcc_lo, v26, v81
	v_add_co_ci_u32_e64 v29, null, 0, v27, vcc_lo
	s_clause 0x1
	global_load_ushort v26, v[26:27], off
	global_load_dword v27, v[28:29], off offset:2
	s_waitcnt vmcnt(1)
	v_mul_u32_u24_e32 v26, 0x10001, v26
	s_waitcnt vmcnt(0)
	v_pk_lshrrev_b16 v28, 8, v27 op_sel:[1,0] op_sel_hi:[0,0]
	v_pk_lshrrev_b16 v27, 8, v27 op_sel:[1,1] op_sel_hi:[0,1]
	v_lshrrev_b32_e32 v29, 16, v28
	v_cvt_f16_i16_sdwa v28, sext(v28) dst_sel:DWORD dst_unused:UNUSED_PAD src0_sel:BYTE_0
	v_cvt_f16_i16_sdwa v29, sext(v29) dst_sel:DWORD dst_unused:UNUSED_PAD src0_sel:BYTE_0
	v_pack_b32_f16 v28, v28, v29
	v_lshrrev_b32_e32 v29, 16, v27
	v_cvt_f16_i16_sdwa v27, sext(v27) dst_sel:DWORD dst_unused:UNUSED_PAD src0_sel:BYTE_0
	v_pk_mul_f16 v28, v28, v26
	v_cvt_f16_i16_sdwa v29, sext(v29) dst_sel:DWORD dst_unused:UNUSED_PAD src0_sel:BYTE_0
	v_pk_fma_f16 v149, v28, v31, v149
	v_pack_b32_f16 v27, v27, v29
	v_pk_mul_f16 v26, v27, v26
	v_pk_fma_f16 v150, v26, v31, v150
	v_add_co_u32 v26, vcc_lo, v32, v148
	v_add_co_ci_u32_e64 v27, null, v33, v146, vcc_lo
	v_add_co_u32 v28, vcc_lo, v26, v108
	v_add_co_ci_u32_e64 v29, null, 0, v27, vcc_lo
	s_clause 0x1
	global_load_ushort v26, v[26:27], off
	global_load_dword v27, v[28:29], off offset:2
	s_waitcnt vmcnt(1)
	v_mul_u32_u24_e32 v26, 0x10001, v26
	s_waitcnt vmcnt(0)
	v_pk_lshrrev_b16 v28, 8, v27 op_sel:[1,0] op_sel_hi:[0,0]
	v_pk_lshrrev_b16 v27, 8, v27 op_sel:[1,1] op_sel_hi:[0,1]
	v_lshrrev_b32_e32 v29, 16, v28
	v_cvt_f16_i16_sdwa v28, sext(v28) dst_sel:DWORD dst_unused:UNUSED_PAD src0_sel:BYTE_0
	v_cvt_f16_i16_sdwa v29, sext(v29) dst_sel:DWORD dst_unused:UNUSED_PAD src0_sel:BYTE_0
	v_pack_b32_f16 v28, v28, v29
	v_lshrrev_b32_e32 v29, 16, v27
	v_cvt_f16_i16_sdwa v27, sext(v27) dst_sel:DWORD dst_unused:UNUSED_PAD src0_sel:BYTE_0
	v_pk_mul_f16 v28, v28, v26
	v_cvt_f16_i16_sdwa v29, sext(v29) dst_sel:DWORD dst_unused:UNUSED_PAD src0_sel:BYTE_0
	v_pk_fma_f16 v28, v28, v31, v30
	v_pack_b32_f16 v27, v27, v29
	v_mul_u32_u24_sdwa v30, v23, v83 dst_sel:DWORD dst_unused:UNUSED_PAD src0_sel:WORD_1 src1_sel:DWORD
	v_pk_mul_f16 v26, v27, v26
	v_pk_fma_f16 v29, v26, v31, v22
	v_ashrrev_i32_e32 v22, 31, v119
	v_add_co_u32 v31, vcc_lo, s13, v119
	v_add_co_ci_u32_e64 v32, null, s19, v22, vcc_lo
	v_add_co_u32 v22, vcc_lo, v31, v147
	v_add_co_ci_u32_e64 v23, null, v32, v145, vcc_lo
	;; [unrolled: 2-line block ×3, first 2 shown]
	s_clause 0x1
	global_load_ushort v22, v[22:23], off
	global_load_dword v23, v[26:27], off offset:2
	s_waitcnt vmcnt(1)
	v_mul_u32_u24_e32 v22, 0x10001, v22
	s_waitcnt vmcnt(0)
	v_pk_lshrrev_b16 v26, 8, v23 op_sel:[1,0] op_sel_hi:[0,0]
	v_pk_lshrrev_b16 v23, 8, v23 op_sel:[1,1] op_sel_hi:[0,1]
	v_lshrrev_b32_e32 v27, 16, v26
	v_cvt_f16_i16_sdwa v26, sext(v26) dst_sel:DWORD dst_unused:UNUSED_PAD src0_sel:BYTE_0
	v_cvt_f16_i16_sdwa v27, sext(v27) dst_sel:DWORD dst_unused:UNUSED_PAD src0_sel:BYTE_0
	v_pack_b32_f16 v26, v26, v27
	v_lshrrev_b32_e32 v27, 16, v23
	v_cvt_f16_i16_sdwa v23, sext(v23) dst_sel:DWORD dst_unused:UNUSED_PAD src0_sel:BYTE_0
	v_pk_mul_f16 v26, v26, v22
	v_cvt_f16_i16_sdwa v27, sext(v27) dst_sel:DWORD dst_unused:UNUSED_PAD src0_sel:BYTE_0
	v_pk_fma_f16 v33, v26, v30, v149
	v_pack_b32_f16 v23, v23, v27
	v_pk_mul_f16 v22, v23, v22
	v_pk_fma_f16 v149, v22, v30, v150
	v_add_co_u32 v22, vcc_lo, v31, v148
	v_add_co_ci_u32_e64 v23, null, v32, v146, vcc_lo
	v_add_co_u32 v26, vcc_lo, v22, v108
	v_add_co_ci_u32_e64 v27, null, 0, v23, vcc_lo
	global_load_ushort v22, v[22:23], off
	v_add_co_u32 v31, vcc_lo, s13, v120
	global_load_dword v23, v[26:27], off offset:2
	s_waitcnt vmcnt(1)
	v_mul_u32_u24_e32 v22, 0x10001, v22
	s_waitcnt vmcnt(0)
	v_pk_lshrrev_b16 v26, 8, v23 op_sel:[1,0] op_sel_hi:[0,0]
	v_pk_lshrrev_b16 v23, 8, v23 op_sel:[1,1] op_sel_hi:[0,1]
	v_lshrrev_b32_e32 v27, 16, v26
	v_cvt_f16_i16_sdwa v26, sext(v26) dst_sel:DWORD dst_unused:UNUSED_PAD src0_sel:BYTE_0
	v_cvt_f16_i16_sdwa v27, sext(v27) dst_sel:DWORD dst_unused:UNUSED_PAD src0_sel:BYTE_0
	v_pack_b32_f16 v26, v26, v27
	v_lshrrev_b32_e32 v27, 16, v23
	v_cvt_f16_i16_sdwa v23, sext(v23) dst_sel:DWORD dst_unused:UNUSED_PAD src0_sel:BYTE_0
	v_pk_mul_f16 v26, v26, v22
	v_cvt_f16_i16_sdwa v27, sext(v27) dst_sel:DWORD dst_unused:UNUSED_PAD src0_sel:BYTE_0
	v_pk_fma_f16 v28, v26, v30, v28
	v_pack_b32_f16 v23, v23, v27
	v_pk_mul_f16 v22, v23, v22
	v_pk_fma_f16 v29, v22, v30, v29
	v_ashrrev_i32_e32 v22, 31, v120
	v_mul_u32_u24_sdwa v30, v24, v83 dst_sel:DWORD dst_unused:UNUSED_PAD src0_sel:WORD_0 src1_sel:DWORD
	v_mul_u32_u24_sdwa v24, v24, v83 dst_sel:DWORD dst_unused:UNUSED_PAD src0_sel:WORD_1 src1_sel:DWORD
	v_add_co_ci_u32_e64 v32, null, s19, v22, vcc_lo
	v_add_co_u32 v22, vcc_lo, v31, v147
	v_add_co_ci_u32_e64 v23, null, v32, v145, vcc_lo
	v_add_co_u32 v26, vcc_lo, v22, v81
	v_add_co_ci_u32_e64 v27, null, 0, v23, vcc_lo
	s_clause 0x1
	global_load_ushort v22, v[22:23], off
	global_load_dword v23, v[26:27], off offset:2
	s_waitcnt vmcnt(1)
	v_mul_u32_u24_e32 v22, 0x10001, v22
	s_waitcnt vmcnt(0)
	v_pk_lshrrev_b16 v26, 8, v23 op_sel:[1,0] op_sel_hi:[0,0]
	v_pk_lshrrev_b16 v23, 8, v23 op_sel:[1,1] op_sel_hi:[0,1]
	v_lshrrev_b32_e32 v27, 16, v26
	v_cvt_f16_i16_sdwa v26, sext(v26) dst_sel:DWORD dst_unused:UNUSED_PAD src0_sel:BYTE_0
	v_cvt_f16_i16_sdwa v27, sext(v27) dst_sel:DWORD dst_unused:UNUSED_PAD src0_sel:BYTE_0
	v_pack_b32_f16 v26, v26, v27
	v_lshrrev_b32_e32 v27, 16, v23
	v_cvt_f16_i16_sdwa v23, sext(v23) dst_sel:DWORD dst_unused:UNUSED_PAD src0_sel:BYTE_0
	v_pk_mul_f16 v26, v26, v22
	v_cvt_f16_i16_sdwa v27, sext(v27) dst_sel:DWORD dst_unused:UNUSED_PAD src0_sel:BYTE_0
	v_pk_fma_f16 v33, v26, v30, v33
	v_pack_b32_f16 v23, v23, v27
	v_pk_mul_f16 v22, v23, v22
	v_pk_fma_f16 v149, v22, v30, v149
	v_add_co_u32 v22, vcc_lo, v31, v148
	v_add_co_ci_u32_e64 v23, null, v32, v146, vcc_lo
	v_add_co_u32 v26, vcc_lo, v22, v108
	v_add_co_ci_u32_e64 v27, null, 0, v23, vcc_lo
	s_clause 0x1
	global_load_ushort v22, v[22:23], off
	global_load_dword v23, v[26:27], off offset:2
	s_waitcnt vmcnt(1)
	v_mul_u32_u24_e32 v22, 0x10001, v22
	s_waitcnt vmcnt(0)
	v_pk_lshrrev_b16 v26, 8, v23 op_sel:[1,0] op_sel_hi:[0,0]
	v_pk_lshrrev_b16 v23, 8, v23 op_sel:[1,1] op_sel_hi:[0,1]
	v_lshrrev_b32_e32 v27, 16, v26
	v_cvt_f16_i16_sdwa v26, sext(v26) dst_sel:DWORD dst_unused:UNUSED_PAD src0_sel:BYTE_0
	v_cvt_f16_i16_sdwa v27, sext(v27) dst_sel:DWORD dst_unused:UNUSED_PAD src0_sel:BYTE_0
	v_pack_b32_f16 v26, v26, v27
	v_lshrrev_b32_e32 v27, 16, v23
	v_cvt_f16_i16_sdwa v23, sext(v23) dst_sel:DWORD dst_unused:UNUSED_PAD src0_sel:BYTE_0
	v_pk_mul_f16 v26, v26, v22
	v_cvt_f16_i16_sdwa v27, sext(v27) dst_sel:DWORD dst_unused:UNUSED_PAD src0_sel:BYTE_0
	v_pk_fma_f16 v28, v26, v30, v28
	v_pack_b32_f16 v23, v23, v27
	v_pk_mul_f16 v22, v23, v22
	v_pk_fma_f16 v29, v22, v30, v29
	v_ashrrev_i32_e32 v22, 31, v121
	v_add_co_u32 v30, vcc_lo, s13, v121
	v_add_co_ci_u32_e64 v31, null, s19, v22, vcc_lo
	v_add_co_u32 v22, vcc_lo, v30, v147
	v_add_co_ci_u32_e64 v23, null, v31, v145, vcc_lo
	;; [unrolled: 2-line block ×3, first 2 shown]
	s_clause 0x1
	global_load_ushort v22, v[22:23], off
	global_load_dword v23, v[26:27], off offset:2
	s_waitcnt vmcnt(1)
	v_mul_u32_u24_e32 v22, 0x10001, v22
	s_waitcnt vmcnt(0)
	v_pk_lshrrev_b16 v26, 8, v23 op_sel:[1,0] op_sel_hi:[0,0]
	v_pk_lshrrev_b16 v23, 8, v23 op_sel:[1,1] op_sel_hi:[0,1]
	v_lshrrev_b32_e32 v27, 16, v26
	v_cvt_f16_i16_sdwa v26, sext(v26) dst_sel:DWORD dst_unused:UNUSED_PAD src0_sel:BYTE_0
	v_cvt_f16_i16_sdwa v27, sext(v27) dst_sel:DWORD dst_unused:UNUSED_PAD src0_sel:BYTE_0
	v_pack_b32_f16 v26, v26, v27
	v_lshrrev_b32_e32 v27, 16, v23
	v_cvt_f16_i16_sdwa v23, sext(v23) dst_sel:DWORD dst_unused:UNUSED_PAD src0_sel:BYTE_0
	v_pk_mul_f16 v26, v26, v22
	v_cvt_f16_i16_sdwa v27, sext(v27) dst_sel:DWORD dst_unused:UNUSED_PAD src0_sel:BYTE_0
	v_pk_fma_f16 v32, v26, v24, v33
	v_pack_b32_f16 v23, v23, v27
	v_pk_mul_f16 v22, v23, v22
	v_pk_fma_f16 v33, v22, v24, v149
	v_add_co_u32 v22, vcc_lo, v30, v148
	v_add_co_ci_u32_e64 v23, null, v31, v146, vcc_lo
	v_add_co_u32 v26, vcc_lo, v22, v108
	v_add_co_ci_u32_e64 v27, null, 0, v23, vcc_lo
	global_load_ushort v22, v[22:23], off
	v_add_co_u32 v30, vcc_lo, s13, v123
	global_load_dword v23, v[26:27], off offset:2
	s_waitcnt vmcnt(1)
	v_mul_u32_u24_e32 v22, 0x10001, v22
	s_waitcnt vmcnt(0)
	v_pk_lshrrev_b16 v26, 8, v23 op_sel:[1,0] op_sel_hi:[0,0]
	v_pk_lshrrev_b16 v23, 8, v23 op_sel:[1,1] op_sel_hi:[0,1]
	v_lshrrev_b32_e32 v27, 16, v26
	v_cvt_f16_i16_sdwa v26, sext(v26) dst_sel:DWORD dst_unused:UNUSED_PAD src0_sel:BYTE_0
	v_cvt_f16_i16_sdwa v27, sext(v27) dst_sel:DWORD dst_unused:UNUSED_PAD src0_sel:BYTE_0
	v_pack_b32_f16 v26, v26, v27
	v_lshrrev_b32_e32 v27, 16, v23
	v_cvt_f16_i16_sdwa v23, sext(v23) dst_sel:DWORD dst_unused:UNUSED_PAD src0_sel:BYTE_0
	v_pk_mul_f16 v26, v26, v22
	v_cvt_f16_i16_sdwa v27, sext(v27) dst_sel:DWORD dst_unused:UNUSED_PAD src0_sel:BYTE_0
	v_pk_fma_f16 v28, v26, v24, v28
	v_pack_b32_f16 v23, v23, v27
	v_pk_mul_f16 v22, v23, v22
	v_pk_fma_f16 v24, v22, v24, v29
	v_ashrrev_i32_e32 v22, 31, v123
	v_mul_u32_u24_sdwa v29, v25, v83 dst_sel:DWORD dst_unused:UNUSED_PAD src0_sel:WORD_0 src1_sel:DWORD
	v_add_co_ci_u32_e64 v31, null, s19, v22, vcc_lo
	v_add_co_u32 v22, vcc_lo, v30, v147
	v_add_co_ci_u32_e64 v23, null, v31, v145, vcc_lo
	v_add_co_u32 v26, vcc_lo, v22, v81
	v_add_co_ci_u32_e64 v27, null, 0, v23, vcc_lo
	s_clause 0x1
	global_load_ushort v22, v[22:23], off
	global_load_dword v23, v[26:27], off offset:2
	s_waitcnt vmcnt(1)
	v_mul_u32_u24_e32 v22, 0x10001, v22
	s_waitcnt vmcnt(0)
	v_pk_lshrrev_b16 v26, 8, v23 op_sel:[1,0] op_sel_hi:[0,0]
	v_pk_lshrrev_b16 v23, 8, v23 op_sel:[1,1] op_sel_hi:[0,1]
	v_lshrrev_b32_e32 v27, 16, v26
	v_cvt_f16_i16_sdwa v26, sext(v26) dst_sel:DWORD dst_unused:UNUSED_PAD src0_sel:BYTE_0
	v_cvt_f16_i16_sdwa v27, sext(v27) dst_sel:DWORD dst_unused:UNUSED_PAD src0_sel:BYTE_0
	v_pack_b32_f16 v26, v26, v27
	v_lshrrev_b32_e32 v27, 16, v23
	v_cvt_f16_i16_sdwa v23, sext(v23) dst_sel:DWORD dst_unused:UNUSED_PAD src0_sel:BYTE_0
	v_pk_mul_f16 v26, v26, v22
	v_cvt_f16_i16_sdwa v27, sext(v27) dst_sel:DWORD dst_unused:UNUSED_PAD src0_sel:BYTE_0
	v_pk_fma_f16 v32, v26, v29, v32
	v_pack_b32_f16 v23, v23, v27
	v_pk_mul_f16 v22, v23, v22
	v_pk_fma_f16 v33, v22, v29, v33
	v_add_co_u32 v22, vcc_lo, v30, v148
	v_add_co_ci_u32_e64 v23, null, v31, v146, vcc_lo
	v_add_co_u32 v26, vcc_lo, v22, v108
	v_add_co_ci_u32_e64 v27, null, 0, v23, vcc_lo
	s_clause 0x1
	global_load_ushort v22, v[22:23], off
	global_load_dword v23, v[26:27], off offset:2
	s_waitcnt vmcnt(1)
	v_mul_u32_u24_e32 v22, 0x10001, v22
	s_waitcnt vmcnt(0)
	v_pk_lshrrev_b16 v26, 8, v23 op_sel:[1,0] op_sel_hi:[0,0]
	v_pk_lshrrev_b16 v23, 8, v23 op_sel:[1,1] op_sel_hi:[0,1]
	v_lshrrev_b32_e32 v27, 16, v26
	v_cvt_f16_i16_sdwa v26, sext(v26) dst_sel:DWORD dst_unused:UNUSED_PAD src0_sel:BYTE_0
	v_cvt_f16_i16_sdwa v27, sext(v27) dst_sel:DWORD dst_unused:UNUSED_PAD src0_sel:BYTE_0
	v_pack_b32_f16 v26, v26, v27
	v_lshrrev_b32_e32 v27, 16, v23
	v_cvt_f16_i16_sdwa v23, sext(v23) dst_sel:DWORD dst_unused:UNUSED_PAD src0_sel:BYTE_0
	v_pk_mul_f16 v26, v26, v22
	v_cvt_f16_i16_sdwa v27, sext(v27) dst_sel:DWORD dst_unused:UNUSED_PAD src0_sel:BYTE_0
	v_pk_fma_f16 v26, v26, v29, v28
	v_pack_b32_f16 v23, v23, v27
	v_mul_u32_u24_sdwa v28, v25, v83 dst_sel:DWORD dst_unused:UNUSED_PAD src0_sel:WORD_1 src1_sel:DWORD
	v_pk_mul_f16 v22, v23, v22
	v_pk_fma_f16 v27, v22, v29, v24
	v_ashrrev_i32_e32 v22, 31, v125
	v_add_co_u32 v29, vcc_lo, s13, v125
	v_add_co_ci_u32_e64 v30, null, s19, v22, vcc_lo
	v_add_co_u32 v22, vcc_lo, v29, v147
	v_add_co_ci_u32_e64 v23, null, v30, v145, vcc_lo
	;; [unrolled: 2-line block ×3, first 2 shown]
	s_clause 0x1
	global_load_ushort v22, v[22:23], off
	global_load_dword v23, v[24:25], off offset:2
	s_waitcnt vmcnt(1)
	v_mul_u32_u24_e32 v22, 0x10001, v22
	s_waitcnt vmcnt(0)
	v_pk_lshrrev_b16 v24, 8, v23 op_sel:[1,0] op_sel_hi:[0,0]
	v_pk_lshrrev_b16 v23, 8, v23 op_sel:[1,1] op_sel_hi:[0,1]
	v_lshrrev_b32_e32 v25, 16, v24
	v_cvt_f16_i16_sdwa v24, sext(v24) dst_sel:DWORD dst_unused:UNUSED_PAD src0_sel:BYTE_0
	v_cvt_f16_i16_sdwa v25, sext(v25) dst_sel:DWORD dst_unused:UNUSED_PAD src0_sel:BYTE_0
	v_pack_b32_f16 v24, v24, v25
	v_lshrrev_b32_e32 v25, 16, v23
	v_cvt_f16_i16_sdwa v23, sext(v23) dst_sel:DWORD dst_unused:UNUSED_PAD src0_sel:BYTE_0
	v_pk_mul_f16 v24, v24, v22
	v_cvt_f16_i16_sdwa v25, sext(v25) dst_sel:DWORD dst_unused:UNUSED_PAD src0_sel:BYTE_0
	v_pk_fma_f16 v31, v24, v28, v32
	v_pack_b32_f16 v23, v23, v25
	v_pk_mul_f16 v22, v23, v22
	v_pk_fma_f16 v32, v22, v28, v33
	v_add_co_u32 v22, vcc_lo, v29, v148
	v_add_co_ci_u32_e64 v23, null, v30, v146, vcc_lo
	v_add_co_u32 v24, vcc_lo, v22, v108
	v_add_co_ci_u32_e64 v25, null, 0, v23, vcc_lo
	global_load_ushort v22, v[22:23], off
	v_add_co_u32 v29, vcc_lo, s13, v126
	global_load_dword v23, v[24:25], off offset:2
	s_waitcnt vmcnt(1)
	v_mul_u32_u24_e32 v22, 0x10001, v22
	s_waitcnt vmcnt(0)
	v_pk_lshrrev_b16 v24, 8, v23 op_sel:[1,0] op_sel_hi:[0,0]
	v_pk_lshrrev_b16 v23, 8, v23 op_sel:[1,1] op_sel_hi:[0,1]
	v_lshrrev_b32_e32 v25, 16, v24
	v_cvt_f16_i16_sdwa v24, sext(v24) dst_sel:DWORD dst_unused:UNUSED_PAD src0_sel:BYTE_0
	v_cvt_f16_i16_sdwa v25, sext(v25) dst_sel:DWORD dst_unused:UNUSED_PAD src0_sel:BYTE_0
	v_pack_b32_f16 v24, v24, v25
	v_lshrrev_b32_e32 v25, 16, v23
	v_cvt_f16_i16_sdwa v23, sext(v23) dst_sel:DWORD dst_unused:UNUSED_PAD src0_sel:BYTE_0
	v_pk_mul_f16 v24, v24, v22
	v_cvt_f16_i16_sdwa v25, sext(v25) dst_sel:DWORD dst_unused:UNUSED_PAD src0_sel:BYTE_0
	v_pk_fma_f16 v26, v24, v28, v26
	v_pack_b32_f16 v23, v23, v25
	v_pk_mul_f16 v22, v23, v22
	v_pk_fma_f16 v27, v22, v28, v27
	v_ashrrev_i32_e32 v22, 31, v126
	s_waitcnt lgkmcnt(0)
	v_mul_u32_u24_sdwa v28, v18, v83 dst_sel:DWORD dst_unused:UNUSED_PAD src0_sel:WORD_0 src1_sel:DWORD
	v_mul_u32_u24_sdwa v18, v18, v83 dst_sel:DWORD dst_unused:UNUSED_PAD src0_sel:WORD_1 src1_sel:DWORD
	v_add_co_ci_u32_e64 v30, null, s19, v22, vcc_lo
	v_add_co_u32 v22, vcc_lo, v29, v147
	v_add_co_ci_u32_e64 v23, null, v30, v145, vcc_lo
	v_add_co_u32 v24, vcc_lo, v22, v81
	v_add_co_ci_u32_e64 v25, null, 0, v23, vcc_lo
	s_clause 0x1
	global_load_ushort v22, v[22:23], off
	global_load_dword v23, v[24:25], off offset:2
	s_waitcnt vmcnt(1)
	v_mul_u32_u24_e32 v22, 0x10001, v22
	s_waitcnt vmcnt(0)
	v_pk_lshrrev_b16 v24, 8, v23 op_sel:[1,0] op_sel_hi:[0,0]
	v_pk_lshrrev_b16 v23, 8, v23 op_sel:[1,1] op_sel_hi:[0,1]
	v_lshrrev_b32_e32 v25, 16, v24
	v_cvt_f16_i16_sdwa v24, sext(v24) dst_sel:DWORD dst_unused:UNUSED_PAD src0_sel:BYTE_0
	v_cvt_f16_i16_sdwa v25, sext(v25) dst_sel:DWORD dst_unused:UNUSED_PAD src0_sel:BYTE_0
	v_pack_b32_f16 v24, v24, v25
	v_lshrrev_b32_e32 v25, 16, v23
	v_cvt_f16_i16_sdwa v23, sext(v23) dst_sel:DWORD dst_unused:UNUSED_PAD src0_sel:BYTE_0
	v_pk_mul_f16 v24, v24, v22
	v_cvt_f16_i16_sdwa v25, sext(v25) dst_sel:DWORD dst_unused:UNUSED_PAD src0_sel:BYTE_0
	v_pk_fma_f16 v31, v24, v28, v31
	v_pack_b32_f16 v23, v23, v25
	v_pk_mul_f16 v22, v23, v22
	v_pk_fma_f16 v32, v22, v28, v32
	v_add_co_u32 v22, vcc_lo, v29, v148
	v_add_co_ci_u32_e64 v23, null, v30, v146, vcc_lo
	v_add_co_u32 v24, vcc_lo, v22, v108
	v_add_co_ci_u32_e64 v25, null, 0, v23, vcc_lo
	s_clause 0x1
	global_load_ushort v22, v[22:23], off
	global_load_dword v23, v[24:25], off offset:2
	s_waitcnt vmcnt(1)
	v_mul_u32_u24_e32 v22, 0x10001, v22
	s_waitcnt vmcnt(0)
	v_pk_lshrrev_b16 v24, 8, v23 op_sel:[1,0] op_sel_hi:[0,0]
	v_pk_lshrrev_b16 v23, 8, v23 op_sel:[1,1] op_sel_hi:[0,1]
	v_lshrrev_b32_e32 v25, 16, v24
	v_cvt_f16_i16_sdwa v24, sext(v24) dst_sel:DWORD dst_unused:UNUSED_PAD src0_sel:BYTE_0
	v_cvt_f16_i16_sdwa v25, sext(v25) dst_sel:DWORD dst_unused:UNUSED_PAD src0_sel:BYTE_0
	v_pack_b32_f16 v24, v24, v25
	v_lshrrev_b32_e32 v25, 16, v23
	v_cvt_f16_i16_sdwa v23, sext(v23) dst_sel:DWORD dst_unused:UNUSED_PAD src0_sel:BYTE_0
	v_pk_mul_f16 v24, v24, v22
	v_cvt_f16_i16_sdwa v25, sext(v25) dst_sel:DWORD dst_unused:UNUSED_PAD src0_sel:BYTE_0
	v_pk_fma_f16 v26, v24, v28, v26
	v_pack_b32_f16 v23, v23, v25
	v_pk_mul_f16 v22, v23, v22
	v_pk_fma_f16 v27, v22, v28, v27
	v_add_co_u32 v28, vcc_lo, s13, v127
	v_add_co_ci_u32_e64 v29, null, s19, v136, vcc_lo
	v_add_co_u32 v22, vcc_lo, v28, v147
	v_add_co_ci_u32_e64 v23, null, v29, v145, vcc_lo
	;; [unrolled: 2-line block ×3, first 2 shown]
	s_clause 0x1
	global_load_ushort v22, v[22:23], off
	global_load_dword v23, v[24:25], off offset:2
	s_waitcnt vmcnt(1)
	v_mul_u32_u24_e32 v22, 0x10001, v22
	s_waitcnt vmcnt(0)
	v_pk_lshrrev_b16 v24, 8, v23 op_sel:[1,0] op_sel_hi:[0,0]
	v_pk_lshrrev_b16 v23, 8, v23 op_sel:[1,1] op_sel_hi:[0,1]
	v_lshrrev_b32_e32 v25, 16, v24
	v_cvt_f16_i16_sdwa v24, sext(v24) dst_sel:DWORD dst_unused:UNUSED_PAD src0_sel:BYTE_0
	v_cvt_f16_i16_sdwa v25, sext(v25) dst_sel:DWORD dst_unused:UNUSED_PAD src0_sel:BYTE_0
	v_pack_b32_f16 v24, v24, v25
	v_lshrrev_b32_e32 v25, 16, v23
	v_cvt_f16_i16_sdwa v23, sext(v23) dst_sel:DWORD dst_unused:UNUSED_PAD src0_sel:BYTE_0
	v_pk_mul_f16 v24, v24, v22
	v_cvt_f16_i16_sdwa v25, sext(v25) dst_sel:DWORD dst_unused:UNUSED_PAD src0_sel:BYTE_0
	v_pk_fma_f16 v30, v24, v18, v31
	v_pack_b32_f16 v23, v23, v25
	v_pk_mul_f16 v22, v23, v22
	v_pk_fma_f16 v31, v22, v18, v32
	v_add_co_u32 v22, vcc_lo, v28, v148
	v_add_co_ci_u32_e64 v23, null, v29, v146, vcc_lo
	v_add_co_u32 v24, vcc_lo, v22, v108
	v_add_co_ci_u32_e64 v25, null, 0, v23, vcc_lo
	global_load_ushort v22, v[22:23], off
	v_add_co_u32 v28, vcc_lo, s13, v128
	global_load_dword v23, v[24:25], off offset:2
	v_add_co_ci_u32_e64 v29, null, s19, v137, vcc_lo
	s_waitcnt vmcnt(1)
	v_mul_u32_u24_e32 v22, 0x10001, v22
	s_waitcnt vmcnt(0)
	v_pk_lshrrev_b16 v24, 8, v23 op_sel:[1,0] op_sel_hi:[0,0]
	v_pk_lshrrev_b16 v23, 8, v23 op_sel:[1,1] op_sel_hi:[0,1]
	v_lshrrev_b32_e32 v25, 16, v24
	v_cvt_f16_i16_sdwa v24, sext(v24) dst_sel:DWORD dst_unused:UNUSED_PAD src0_sel:BYTE_0
	v_cvt_f16_i16_sdwa v25, sext(v25) dst_sel:DWORD dst_unused:UNUSED_PAD src0_sel:BYTE_0
	v_pack_b32_f16 v24, v24, v25
	v_lshrrev_b32_e32 v25, 16, v23
	v_cvt_f16_i16_sdwa v23, sext(v23) dst_sel:DWORD dst_unused:UNUSED_PAD src0_sel:BYTE_0
	v_pk_mul_f16 v24, v24, v22
	v_cvt_f16_i16_sdwa v25, sext(v25) dst_sel:DWORD dst_unused:UNUSED_PAD src0_sel:BYTE_0
	v_pk_fma_f16 v26, v24, v18, v26
	v_pack_b32_f16 v23, v23, v25
	v_pk_mul_f16 v22, v23, v22
	v_pk_fma_f16 v18, v22, v18, v27
	v_add_co_u32 v22, vcc_lo, v28, v147
	v_add_co_ci_u32_e64 v23, null, v29, v145, vcc_lo
	v_mul_u32_u24_sdwa v27, v19, v83 dst_sel:DWORD dst_unused:UNUSED_PAD src0_sel:WORD_0 src1_sel:DWORD
	v_add_co_u32 v24, vcc_lo, v22, v81
	v_add_co_ci_u32_e64 v25, null, 0, v23, vcc_lo
	s_clause 0x1
	global_load_ushort v22, v[22:23], off
	global_load_dword v23, v[24:25], off offset:2
	s_waitcnt vmcnt(1)
	v_mul_u32_u24_e32 v22, 0x10001, v22
	s_waitcnt vmcnt(0)
	v_pk_lshrrev_b16 v24, 8, v23 op_sel:[1,0] op_sel_hi:[0,0]
	v_pk_lshrrev_b16 v23, 8, v23 op_sel:[1,1] op_sel_hi:[0,1]
	v_lshrrev_b32_e32 v25, 16, v24
	v_cvt_f16_i16_sdwa v24, sext(v24) dst_sel:DWORD dst_unused:UNUSED_PAD src0_sel:BYTE_0
	v_cvt_f16_i16_sdwa v25, sext(v25) dst_sel:DWORD dst_unused:UNUSED_PAD src0_sel:BYTE_0
	v_pack_b32_f16 v24, v24, v25
	v_lshrrev_b32_e32 v25, 16, v23
	v_cvt_f16_i16_sdwa v23, sext(v23) dst_sel:DWORD dst_unused:UNUSED_PAD src0_sel:BYTE_0
	v_pk_mul_f16 v24, v24, v22
	v_cvt_f16_i16_sdwa v25, sext(v25) dst_sel:DWORD dst_unused:UNUSED_PAD src0_sel:BYTE_0
	v_pk_fma_f16 v30, v24, v27, v30
	v_pack_b32_f16 v23, v23, v25
	v_pk_mul_f16 v22, v23, v22
	v_pk_fma_f16 v31, v22, v27, v31
	v_add_co_u32 v22, vcc_lo, v28, v148
	v_add_co_ci_u32_e64 v23, null, v29, v146, vcc_lo
	v_add_co_u32 v24, vcc_lo, v22, v108
	v_add_co_ci_u32_e64 v25, null, 0, v23, vcc_lo
	s_clause 0x1
	global_load_ushort v22, v[22:23], off
	global_load_dword v23, v[24:25], off offset:2
	s_waitcnt vmcnt(1)
	v_mul_u32_u24_e32 v22, 0x10001, v22
	s_waitcnt vmcnt(0)
	v_pk_lshrrev_b16 v24, 8, v23 op_sel:[1,0] op_sel_hi:[0,0]
	v_pk_lshrrev_b16 v23, 8, v23 op_sel:[1,1] op_sel_hi:[0,1]
	v_lshrrev_b32_e32 v25, 16, v24
	v_cvt_f16_i16_sdwa v24, sext(v24) dst_sel:DWORD dst_unused:UNUSED_PAD src0_sel:BYTE_0
	v_cvt_f16_i16_sdwa v25, sext(v25) dst_sel:DWORD dst_unused:UNUSED_PAD src0_sel:BYTE_0
	v_pack_b32_f16 v24, v24, v25
	v_lshrrev_b32_e32 v25, 16, v23
	v_cvt_f16_i16_sdwa v23, sext(v23) dst_sel:DWORD dst_unused:UNUSED_PAD src0_sel:BYTE_0
	v_pk_mul_f16 v24, v24, v22
	v_cvt_f16_i16_sdwa v25, sext(v25) dst_sel:DWORD dst_unused:UNUSED_PAD src0_sel:BYTE_0
	v_pk_fma_f16 v24, v24, v27, v26
	v_pack_b32_f16 v23, v23, v25
	v_mul_u32_u24_sdwa v26, v19, v83 dst_sel:DWORD dst_unused:UNUSED_PAD src0_sel:WORD_1 src1_sel:DWORD
	v_pk_mul_f16 v22, v23, v22
	v_pk_fma_f16 v25, v22, v27, v18
	v_add_co_u32 v27, vcc_lo, s13, v129
	v_add_co_ci_u32_e64 v28, null, s19, v139, vcc_lo
	v_add_co_u32 v18, vcc_lo, v27, v147
	v_add_co_ci_u32_e64 v19, null, v28, v145, vcc_lo
	;; [unrolled: 2-line block ×3, first 2 shown]
	s_clause 0x1
	global_load_ushort v18, v[18:19], off
	global_load_dword v19, v[22:23], off offset:2
	s_waitcnt vmcnt(1)
	v_mul_u32_u24_e32 v18, 0x10001, v18
	s_waitcnt vmcnt(0)
	v_pk_lshrrev_b16 v22, 8, v19 op_sel:[1,0] op_sel_hi:[0,0]
	v_pk_lshrrev_b16 v19, 8, v19 op_sel:[1,1] op_sel_hi:[0,1]
	v_lshrrev_b32_e32 v23, 16, v22
	v_cvt_f16_i16_sdwa v22, sext(v22) dst_sel:DWORD dst_unused:UNUSED_PAD src0_sel:BYTE_0
	v_cvt_f16_i16_sdwa v23, sext(v23) dst_sel:DWORD dst_unused:UNUSED_PAD src0_sel:BYTE_0
	v_pack_b32_f16 v22, v22, v23
	v_lshrrev_b32_e32 v23, 16, v19
	v_cvt_f16_i16_sdwa v19, sext(v19) dst_sel:DWORD dst_unused:UNUSED_PAD src0_sel:BYTE_0
	v_pk_mul_f16 v22, v22, v18
	v_cvt_f16_i16_sdwa v23, sext(v23) dst_sel:DWORD dst_unused:UNUSED_PAD src0_sel:BYTE_0
	v_pk_fma_f16 v29, v22, v26, v30
	v_pack_b32_f16 v19, v19, v23
	v_pk_mul_f16 v18, v19, v18
	v_pk_fma_f16 v30, v18, v26, v31
	v_add_co_u32 v18, vcc_lo, v27, v148
	v_add_co_ci_u32_e64 v19, null, v28, v146, vcc_lo
	v_add_co_u32 v22, vcc_lo, v18, v108
	v_add_co_ci_u32_e64 v23, null, 0, v19, vcc_lo
	global_load_ushort v18, v[18:19], off
	v_add_co_u32 v27, vcc_lo, s13, v131
	global_load_dword v19, v[22:23], off offset:2
	v_add_co_ci_u32_e64 v28, null, s19, v140, vcc_lo
	s_waitcnt vmcnt(1)
	v_mul_u32_u24_e32 v18, 0x10001, v18
	s_waitcnt vmcnt(0)
	v_pk_lshrrev_b16 v22, 8, v19 op_sel:[1,0] op_sel_hi:[0,0]
	v_pk_lshrrev_b16 v19, 8, v19 op_sel:[1,1] op_sel_hi:[0,1]
	v_lshrrev_b32_e32 v23, 16, v22
	v_cvt_f16_i16_sdwa v22, sext(v22) dst_sel:DWORD dst_unused:UNUSED_PAD src0_sel:BYTE_0
	v_cvt_f16_i16_sdwa v23, sext(v23) dst_sel:DWORD dst_unused:UNUSED_PAD src0_sel:BYTE_0
	v_pack_b32_f16 v22, v22, v23
	v_lshrrev_b32_e32 v23, 16, v19
	v_cvt_f16_i16_sdwa v19, sext(v19) dst_sel:DWORD dst_unused:UNUSED_PAD src0_sel:BYTE_0
	v_pk_mul_f16 v22, v22, v18
	v_cvt_f16_i16_sdwa v23, sext(v23) dst_sel:DWORD dst_unused:UNUSED_PAD src0_sel:BYTE_0
	v_pk_fma_f16 v24, v22, v26, v24
	v_pack_b32_f16 v19, v19, v23
	v_pk_mul_f16 v18, v19, v18
	v_pk_fma_f16 v25, v18, v26, v25
	v_add_co_u32 v18, vcc_lo, v27, v147
	v_add_co_ci_u32_e64 v19, null, v28, v145, vcc_lo
	v_mul_u32_u24_sdwa v26, v20, v83 dst_sel:DWORD dst_unused:UNUSED_PAD src0_sel:WORD_0 src1_sel:DWORD
	v_add_co_u32 v22, vcc_lo, v18, v81
	v_add_co_ci_u32_e64 v23, null, 0, v19, vcc_lo
	global_load_ushort v18, v[18:19], off
	v_mul_u32_u24_sdwa v20, v20, v83 dst_sel:DWORD dst_unused:UNUSED_PAD src0_sel:WORD_1 src1_sel:DWORD
	global_load_dword v19, v[22:23], off offset:2
	s_waitcnt vmcnt(1)
	v_mul_u32_u24_e32 v18, 0x10001, v18
	s_waitcnt vmcnt(0)
	v_pk_lshrrev_b16 v22, 8, v19 op_sel:[1,0] op_sel_hi:[0,0]
	v_pk_lshrrev_b16 v19, 8, v19 op_sel:[1,1] op_sel_hi:[0,1]
	v_lshrrev_b32_e32 v23, 16, v22
	v_cvt_f16_i16_sdwa v22, sext(v22) dst_sel:DWORD dst_unused:UNUSED_PAD src0_sel:BYTE_0
	v_cvt_f16_i16_sdwa v23, sext(v23) dst_sel:DWORD dst_unused:UNUSED_PAD src0_sel:BYTE_0
	v_pack_b32_f16 v22, v22, v23
	v_lshrrev_b32_e32 v23, 16, v19
	v_cvt_f16_i16_sdwa v19, sext(v19) dst_sel:DWORD dst_unused:UNUSED_PAD src0_sel:BYTE_0
	v_pk_mul_f16 v22, v22, v18
	v_cvt_f16_i16_sdwa v23, sext(v23) dst_sel:DWORD dst_unused:UNUSED_PAD src0_sel:BYTE_0
	v_pk_fma_f16 v29, v22, v26, v29
	v_pack_b32_f16 v19, v19, v23
	v_pk_mul_f16 v18, v19, v18
	v_pk_fma_f16 v30, v18, v26, v30
	v_add_co_u32 v18, vcc_lo, v27, v148
	v_add_co_ci_u32_e64 v19, null, v28, v146, vcc_lo
	v_add_co_u32 v22, vcc_lo, v18, v108
	v_add_co_ci_u32_e64 v23, null, 0, v19, vcc_lo
	s_clause 0x1
	global_load_ushort v18, v[18:19], off
	global_load_dword v19, v[22:23], off offset:2
	s_waitcnt vmcnt(1)
	v_mul_u32_u24_e32 v18, 0x10001, v18
	s_waitcnt vmcnt(0)
	v_pk_lshrrev_b16 v22, 8, v19 op_sel:[1,0] op_sel_hi:[0,0]
	v_pk_lshrrev_b16 v19, 8, v19 op_sel:[1,1] op_sel_hi:[0,1]
	v_lshrrev_b32_e32 v23, 16, v22
	v_cvt_f16_i16_sdwa v22, sext(v22) dst_sel:DWORD dst_unused:UNUSED_PAD src0_sel:BYTE_0
	v_cvt_f16_i16_sdwa v23, sext(v23) dst_sel:DWORD dst_unused:UNUSED_PAD src0_sel:BYTE_0
	v_pack_b32_f16 v22, v22, v23
	v_lshrrev_b32_e32 v23, 16, v19
	v_cvt_f16_i16_sdwa v19, sext(v19) dst_sel:DWORD dst_unused:UNUSED_PAD src0_sel:BYTE_0
	v_pk_mul_f16 v22, v22, v18
	v_cvt_f16_i16_sdwa v23, sext(v23) dst_sel:DWORD dst_unused:UNUSED_PAD src0_sel:BYTE_0
	v_pk_fma_f16 v24, v22, v26, v24
	v_pack_b32_f16 v19, v19, v23
	v_pk_mul_f16 v18, v19, v18
	v_pk_fma_f16 v25, v18, v26, v25
	v_add_co_u32 v26, vcc_lo, s13, v132
	v_add_co_ci_u32_e64 v27, null, s19, v141, vcc_lo
	v_add_co_u32 v18, vcc_lo, v26, v147
	v_add_co_ci_u32_e64 v19, null, v27, v145, vcc_lo
	;; [unrolled: 2-line block ×3, first 2 shown]
	s_clause 0x1
	global_load_ushort v18, v[18:19], off
	global_load_dword v19, v[22:23], off offset:2
	s_waitcnt vmcnt(1)
	v_mul_u32_u24_e32 v18, 0x10001, v18
	s_waitcnt vmcnt(0)
	v_pk_lshrrev_b16 v22, 8, v19 op_sel:[1,0] op_sel_hi:[0,0]
	v_pk_lshrrev_b16 v19, 8, v19 op_sel:[1,1] op_sel_hi:[0,1]
	v_lshrrev_b32_e32 v23, 16, v22
	v_cvt_f16_i16_sdwa v22, sext(v22) dst_sel:DWORD dst_unused:UNUSED_PAD src0_sel:BYTE_0
	v_cvt_f16_i16_sdwa v23, sext(v23) dst_sel:DWORD dst_unused:UNUSED_PAD src0_sel:BYTE_0
	v_pack_b32_f16 v22, v22, v23
	v_lshrrev_b32_e32 v23, 16, v19
	v_cvt_f16_i16_sdwa v19, sext(v19) dst_sel:DWORD dst_unused:UNUSED_PAD src0_sel:BYTE_0
	v_pk_mul_f16 v22, v22, v18
	v_cvt_f16_i16_sdwa v23, sext(v23) dst_sel:DWORD dst_unused:UNUSED_PAD src0_sel:BYTE_0
	v_pk_fma_f16 v28, v22, v20, v29
	v_pack_b32_f16 v19, v19, v23
	v_pk_mul_f16 v18, v19, v18
	v_pk_fma_f16 v29, v18, v20, v30
	v_add_co_u32 v18, vcc_lo, v26, v148
	v_add_co_ci_u32_e64 v19, null, v27, v146, vcc_lo
	v_add_co_u32 v22, vcc_lo, v18, v108
	v_add_co_ci_u32_e64 v23, null, 0, v19, vcc_lo
	global_load_ushort v18, v[18:19], off
	v_add_co_u32 v26, vcc_lo, s13, v134
	global_load_dword v19, v[22:23], off offset:2
	v_add_co_ci_u32_e64 v27, null, s19, v142, vcc_lo
	s_waitcnt vmcnt(1)
	v_mul_u32_u24_e32 v18, 0x10001, v18
	s_waitcnt vmcnt(0)
	v_pk_lshrrev_b16 v22, 8, v19 op_sel:[1,0] op_sel_hi:[0,0]
	v_pk_lshrrev_b16 v19, 8, v19 op_sel:[1,1] op_sel_hi:[0,1]
	v_lshrrev_b32_e32 v23, 16, v22
	v_cvt_f16_i16_sdwa v22, sext(v22) dst_sel:DWORD dst_unused:UNUSED_PAD src0_sel:BYTE_0
	v_cvt_f16_i16_sdwa v23, sext(v23) dst_sel:DWORD dst_unused:UNUSED_PAD src0_sel:BYTE_0
	v_pack_b32_f16 v22, v22, v23
	v_lshrrev_b32_e32 v23, 16, v19
	v_cvt_f16_i16_sdwa v19, sext(v19) dst_sel:DWORD dst_unused:UNUSED_PAD src0_sel:BYTE_0
	v_pk_mul_f16 v22, v22, v18
	v_cvt_f16_i16_sdwa v23, sext(v23) dst_sel:DWORD dst_unused:UNUSED_PAD src0_sel:BYTE_0
	v_pk_fma_f16 v24, v22, v20, v24
	v_pack_b32_f16 v19, v19, v23
	v_pk_mul_f16 v18, v19, v18
	v_pk_fma_f16 v20, v18, v20, v25
	v_add_co_u32 v18, vcc_lo, v26, v147
	v_add_co_ci_u32_e64 v19, null, v27, v145, vcc_lo
	v_mul_u32_u24_sdwa v25, v21, v83 dst_sel:DWORD dst_unused:UNUSED_PAD src0_sel:WORD_0 src1_sel:DWORD
	v_add_co_u32 v22, vcc_lo, v18, v81
	v_add_co_ci_u32_e64 v23, null, 0, v19, vcc_lo
	s_clause 0x1
	global_load_ushort v18, v[18:19], off
	global_load_dword v19, v[22:23], off offset:2
	s_waitcnt vmcnt(1)
	v_mul_u32_u24_e32 v18, 0x10001, v18
	s_waitcnt vmcnt(0)
	v_pk_lshrrev_b16 v22, 8, v19 op_sel:[1,0] op_sel_hi:[0,0]
	v_pk_lshrrev_b16 v19, 8, v19 op_sel:[1,1] op_sel_hi:[0,1]
	v_lshrrev_b32_e32 v23, 16, v22
	v_cvt_f16_i16_sdwa v22, sext(v22) dst_sel:DWORD dst_unused:UNUSED_PAD src0_sel:BYTE_0
	v_cvt_f16_i16_sdwa v23, sext(v23) dst_sel:DWORD dst_unused:UNUSED_PAD src0_sel:BYTE_0
	v_pack_b32_f16 v22, v22, v23
	v_lshrrev_b32_e32 v23, 16, v19
	v_cvt_f16_i16_sdwa v19, sext(v19) dst_sel:DWORD dst_unused:UNUSED_PAD src0_sel:BYTE_0
	v_pk_mul_f16 v22, v22, v18
	v_cvt_f16_i16_sdwa v23, sext(v23) dst_sel:DWORD dst_unused:UNUSED_PAD src0_sel:BYTE_0
	v_pk_fma_f16 v28, v22, v25, v28
	v_pack_b32_f16 v19, v19, v23
	v_pk_mul_f16 v18, v19, v18
	v_pk_fma_f16 v29, v18, v25, v29
	v_add_co_u32 v18, vcc_lo, v26, v148
	v_add_co_ci_u32_e64 v19, null, v27, v146, vcc_lo
	v_add_co_u32 v22, vcc_lo, v18, v108
	v_add_co_ci_u32_e64 v23, null, 0, v19, vcc_lo
	s_clause 0x1
	global_load_ushort v18, v[18:19], off
	global_load_dword v19, v[22:23], off offset:2
	s_waitcnt vmcnt(1)
	v_mul_u32_u24_e32 v18, 0x10001, v18
	s_waitcnt vmcnt(0)
	v_pk_lshrrev_b16 v22, 8, v19 op_sel:[1,0] op_sel_hi:[0,0]
	v_pk_lshrrev_b16 v19, 8, v19 op_sel:[1,1] op_sel_hi:[0,1]
	v_lshrrev_b32_e32 v23, 16, v22
	v_cvt_f16_i16_sdwa v22, sext(v22) dst_sel:DWORD dst_unused:UNUSED_PAD src0_sel:BYTE_0
	v_cvt_f16_i16_sdwa v23, sext(v23) dst_sel:DWORD dst_unused:UNUSED_PAD src0_sel:BYTE_0
	v_pack_b32_f16 v22, v22, v23
	v_lshrrev_b32_e32 v23, 16, v19
	v_cvt_f16_i16_sdwa v19, sext(v19) dst_sel:DWORD dst_unused:UNUSED_PAD src0_sel:BYTE_0
	v_pk_mul_f16 v22, v22, v18
	v_cvt_f16_i16_sdwa v23, sext(v23) dst_sel:DWORD dst_unused:UNUSED_PAD src0_sel:BYTE_0
	v_pack_b32_f16 v19, v19, v23
	v_pk_mul_f16 v19, v19, v18
	v_pk_fma_f16 v18, v22, v25, v24
	v_pk_fma_f16 v19, v19, v25, v20
	v_add_co_u32 v25, vcc_lo, s13, v138
	v_add_co_ci_u32_e64 v30, null, s19, v143, vcc_lo
	v_mul_u32_u24_sdwa v20, v21, v83 dst_sel:DWORD dst_unused:UNUSED_PAD src0_sel:WORD_1 src1_sel:DWORD
	v_add_co_u32 v21, vcc_lo, v25, v147
	v_add_co_ci_u32_e64 v22, null, v30, v145, vcc_lo
	s_add_u32 s13, s13, s18
	v_add_co_u32 v23, vcc_lo, v21, v81
	v_add_co_ci_u32_e64 v24, null, 0, v22, vcc_lo
	global_load_ushort v21, v[21:22], off
	s_addc_u32 s19, s19, 0
	s_add_u32 s3, s3, s10
	global_load_dword v22, v[23:24], off offset:2
	s_addc_u32 s12, s12, s11
	s_cmp_ge_i32 s2, s34
	s_waitcnt vmcnt(1)
	v_mul_u32_u24_e32 v21, 0x10001, v21
	s_waitcnt vmcnt(0)
	v_pk_lshrrev_b16 v23, 8, v22 op_sel:[1,0] op_sel_hi:[0,0]
	v_pk_lshrrev_b16 v22, 8, v22 op_sel:[1,1] op_sel_hi:[0,1]
	v_lshrrev_b32_e32 v24, 16, v23
	v_cvt_f16_i16_sdwa v23, sext(v23) dst_sel:DWORD dst_unused:UNUSED_PAD src0_sel:BYTE_0
	v_cvt_f16_i16_sdwa v24, sext(v24) dst_sel:DWORD dst_unused:UNUSED_PAD src0_sel:BYTE_0
	v_pack_b32_f16 v23, v23, v24
	v_lshrrev_b32_e32 v24, 16, v22
	v_cvt_f16_i16_sdwa v22, sext(v22) dst_sel:DWORD dst_unused:UNUSED_PAD src0_sel:BYTE_0
	v_pk_mul_f16 v23, v23, v21
	v_cvt_f16_i16_sdwa v24, sext(v24) dst_sel:DWORD dst_unused:UNUSED_PAD src0_sel:BYTE_0
	v_pk_fma_f16 v26, v23, v20, v28
	v_pack_b32_f16 v22, v22, v24
	v_pk_mul_f16 v21, v22, v21
	v_pk_fma_f16 v27, v21, v20, v29
	v_add_co_u32 v21, vcc_lo, v25, v148
	v_add_co_ci_u32_e64 v22, null, v30, v146, vcc_lo
	v_add_co_u32 v23, vcc_lo, v21, v108
	v_add_co_ci_u32_e64 v24, null, 0, v22, vcc_lo
	s_clause 0x1
	global_load_ushort v21, v[21:22], off
	global_load_dword v22, v[23:24], off offset:2
	s_waitcnt vmcnt(1)
	v_mul_u32_u24_e32 v21, 0x10001, v21
	s_waitcnt vmcnt(0)
	v_pk_lshrrev_b16 v23, 8, v22 op_sel:[1,0] op_sel_hi:[0,0]
	v_pk_lshrrev_b16 v22, 8, v22 op_sel:[1,1] op_sel_hi:[0,1]
	v_lshrrev_b32_e32 v24, 16, v23
	v_cvt_f16_i16_sdwa v23, sext(v23) dst_sel:DWORD dst_unused:UNUSED_PAD src0_sel:BYTE_0
	v_cvt_f16_i16_sdwa v24, sext(v24) dst_sel:DWORD dst_unused:UNUSED_PAD src0_sel:BYTE_0
	v_pack_b32_f16 v23, v23, v24
	v_lshrrev_b32_e32 v24, 16, v22
	v_cvt_f16_i16_sdwa v22, sext(v22) dst_sel:DWORD dst_unused:UNUSED_PAD src0_sel:BYTE_0
	v_pk_mul_f16 v23, v23, v21
	v_cvt_f16_i16_sdwa v24, sext(v24) dst_sel:DWORD dst_unused:UNUSED_PAD src0_sel:BYTE_0
	v_pk_fma_f16 v29, v23, v20, v18
	v_pack_b32_f16 v22, v22, v24
	v_pk_mul_f16 v21, v22, v21
	v_pk_fma_f16 v28, v21, v20, v19
	s_cbranch_scc1 .LBB27_30
; %bb.28:                               ;   in Loop: Header=BB27_15 Depth=1
	v_mov_b32_e32 v30, v144
	s_branch .LBB27_15
.LBB27_29:
	v_mov_b32_e32 v26, 0
	v_mov_b32_e32 v144, 0xfeffffff
	;; [unrolled: 1-line block ×5, first 2 shown]
.LBB27_30:
	v_or_b32_e32 v2, s7, v1
	s_cmp_lg_u64 s[16:17], 0
	s_cselect_b32 s1, -1, 0
	v_cmp_eq_u32_e32 vcc_lo, 0, v2
	s_and_b32 s2, vcc_lo, s1
	s_and_saveexec_b32 s1, s2
	s_cbranch_execz .LBB27_32
; %bb.31:
	s_lshl_b64 s[2:3], s[30:31], 2
	v_max_f32_e32 v2, v144, v144
	s_add_u32 s2, s16, s2
	s_addc_u32 s3, s17, s3
	s_load_dword s2, s[2:3], 0x0
	s_waitcnt lgkmcnt(0)
	v_max_f32_e64 v3, s2, s2
	v_max_f32_e32 v2, v2, v3
	v_sub_f32_e32 v3, v144, v2
	v_sub_f32_e32 v4, s2, v2
	v_mov_b32_e32 v144, v2
	v_mul_f32_e32 v5, 0x3fb8aa3b, v3
	v_mul_f32_e32 v6, 0x3fb8aa3b, v4
	v_cmp_ngt_f32_e32 vcc_lo, 0xc2ce8ed0, v3
	v_fma_f32 v7, 0x3fb8aa3b, v3, -v5
	v_rndne_f32_e32 v8, v5
	v_fma_f32 v9, 0x3fb8aa3b, v4, -v6
	v_rndne_f32_e32 v10, v6
	v_fmac_f32_e32 v7, 0x32a5705f, v3
	v_sub_f32_e32 v5, v5, v8
	v_fmac_f32_e32 v9, 0x32a5705f, v4
	v_sub_f32_e32 v6, v6, v10
	v_add_f32_e32 v5, v5, v7
	v_cvt_i32_f32_e32 v7, v8
	v_add_f32_e32 v6, v6, v9
	v_cvt_i32_f32_e32 v8, v10
	v_exp_f32_e32 v5, v5
	v_exp_f32_e32 v6, v6
	v_ldexp_f32 v5, v5, v7
	v_ldexp_f32 v6, v6, v8
	v_cndmask_b32_e32 v5, 0, v5, vcc_lo
	v_cmp_ngt_f32_e32 vcc_lo, 0xc2ce8ed0, v4
	v_cndmask_b32_e32 v6, 0, v6, vcc_lo
	v_cmp_nlt_f32_e32 vcc_lo, 0x42b17218, v3
	v_cndmask_b32_e32 v3, 0x7f800000, v5, vcc_lo
	v_cmp_nlt_f32_e32 vcc_lo, 0x42b17218, v4
	v_mov_b32_e32 v5, 0x10001
	v_cndmask_b32_e32 v4, 0x7f800000, v6, vcc_lo
	v_cmp_eq_u32_e32 vcc_lo, 0, v0
	v_cvt_f16_f32_e32 v6, v3
	v_cndmask_b32_e32 v4, 0, v4, vcc_lo
	v_mul_u32_u24_sdwa v5, v6, v5 dst_sel:DWORD dst_unused:UNUSED_PAD src0_sel:WORD_0 src1_sel:DWORD
	v_fmac_f32_e32 v4, v76, v3
	v_pk_mul_f16 v26, v26, v5
	v_pk_mul_f16 v27, v27, v5
	;; [unrolled: 1-line block ×4, first 2 shown]
	v_mov_b32_e32 v76, v4
.LBB27_32:
	s_or_b32 exec_lo, exec_lo, s1
	s_and_saveexec_b32 s1, s0
	s_cbranch_execz .LBB27_34
; %bb.33:
	v_mov_b32_e32 v2, 0xfeffffff
	v_mov_b32_e32 v3, 0
	v_add_nc_u32_e32 v4, 0x800, v70
	ds_write2_b32 v4, v2, v3 offset1:32
.LBB27_34:
	s_or_b32 exec_lo, exec_lo, s1
	v_cmp_eq_u32_e32 vcc_lo, 0, v0
	v_lshlrev_b32_e32 v4, 2, v1
	s_waitcnt lgkmcnt(0)
	s_barrier
	buffer_gl0_inv
	s_and_saveexec_b32 s0, vcc_lo
; %bb.35:
	ds_write_b32 v4, v144 offset:2048
; %bb.36:
	s_or_b32 exec_lo, exec_lo, s0
	s_waitcnt lgkmcnt(0)
	s_barrier
	buffer_gl0_inv
	ds_read_b32 v2, v70 offset:2048
	v_xor_b32_e32 v3, 16, v66
	v_xor_b32_e32 v6, 8, v66
	;; [unrolled: 1-line block ×5, first 2 shown]
	v_cmp_gt_i32_e64 s0, 32, v3
	s_load_dword s1, s[4:5], 0xd4
	v_lshlrev_b32_e32 v0, 3, v0
	v_cndmask_b32_e64 v3, v66, v3, s0
	v_cmp_gt_i32_e64 s0, 32, v6
	v_lshl_add_u32 v0, v1, 9, v0
	v_lshlrev_b32_e32 v5, 2, v3
	v_cndmask_b32_e64 v6, v66, v6, s0
	v_cmp_gt_i32_e64 s0, 32, v7
	s_waitcnt lgkmcnt(0)
	ds_bpermute_b32 v3, v5, v2
	v_max_f32_e32 v2, v2, v2
	v_lshlrev_b32_e32 v6, 2, v6
	v_cndmask_b32_e64 v7, v66, v7, s0
	v_cmp_gt_i32_e64 s0, 32, v8
	v_lshlrev_b32_e32 v7, 2, v7
	v_cndmask_b32_e64 v8, v66, v8, s0
	v_cmp_gt_i32_e64 s0, 32, v9
	v_lshlrev_b32_e32 v8, 2, v8
	v_cndmask_b32_e64 v9, v66, v9, s0
	s_waitcnt lgkmcnt(0)
	v_max_f32_e32 v3, v3, v3
	v_max_f32_e32 v2, v2, v3
	ds_bpermute_b32 v3, v6, v2
	s_waitcnt lgkmcnt(0)
	v_max_f32_e32 v3, v3, v3
	v_max_f32_e32 v2, v2, v3
	ds_bpermute_b32 v3, v7, v2
	;; [unrolled: 4-line block ×3, first 2 shown]
	s_waitcnt lgkmcnt(0)
	v_max_f32_e32 v10, v3, v3
	v_lshlrev_b32_e32 v3, 2, v9
	v_max_f32_e32 v2, v2, v10
	ds_bpermute_b32 v9, v3, v2
	s_waitcnt lgkmcnt(0)
	v_max_f32_e32 v9, v9, v9
	v_max_f32_e32 v2, v2, v9
	v_sub_f32_e32 v9, v144, v2
	v_mul_f32_e32 v10, 0x3fb8aa3b, v9
	v_cmp_ngt_f32_e64 s0, 0xc2ce8ed0, v9
	v_fma_f32 v11, 0x3fb8aa3b, v9, -v10
	v_rndne_f32_e32 v12, v10
	v_fmamk_f32 v11, v9, 0x32a5705f, v11
	v_sub_f32_e32 v10, v10, v12
	v_add_f32_e32 v10, v10, v11
	v_cvt_i32_f32_e32 v11, v12
	v_mov_b32_e32 v12, 0x10001
	v_exp_f32_e32 v10, v10
	v_ldexp_f32 v10, v10, v11
	v_cndmask_b32_e64 v10, 0, v10, s0
	v_cmp_nlt_f32_e64 s0, 0x42b17218, v9
	v_cndmask_b32_e64 v10, 0x7f800000, v10, s0
	v_mul_f32_e32 v9, v76, v10
	ds_bpermute_b32 v9, v5, v9
	s_waitcnt lgkmcnt(0)
	v_fmac_f32_e32 v9, v76, v10
	ds_bpermute_b32 v11, v6, v9
	s_waitcnt lgkmcnt(0)
	v_add_f32_e32 v9, v9, v11
	ds_bpermute_b32 v11, v7, v9
	s_waitcnt lgkmcnt(0)
	v_add_f32_e32 v9, v9, v11
	;; [unrolled: 3-line block ×3, first 2 shown]
	v_cvt_f16_f32_e32 v11, v10
	ds_bpermute_b32 v10, v3, v9
	v_mul_u32_u24_sdwa v14, v11, v12 dst_sel:DWORD dst_unused:UNUSED_PAD src0_sel:WORD_0 src1_sel:DWORD
	v_pk_mul_f16 v11, v26, v14
	v_pk_mul_f16 v12, v27, v14
	;; [unrolled: 1-line block ×4, first 2 shown]
	ds_write2_b64 v0, v[11:12], v[13:14] offset1:32
	s_and_saveexec_b32 s0, vcc_lo
	s_cbranch_execz .LBB27_38
; %bb.37:
	s_waitcnt lgkmcnt(1)
	v_add_f32_e32 v0, v9, v10
	ds_write_b32 v4, v0 offset:2176
.LBB27_38:
	s_or_b32 exec_lo, exec_lo, s0
	s_waitcnt lgkmcnt(0)
	s_barrier
	buffer_gl0_inv
	ds_read_b32 v0, v70 offset:2176
	s_mul_i32 s2, s33, s28
	s_mov_b32 s3, 0
	s_add_i32 s2, s2, s6
	s_mul_i32 s2, s2, s29
	s_add_i32 s2, s2, s30
	s_mul_i32 s2, s1, s2
	s_add_i32 s2, s2, s7
	s_cmp_eq_u32 s1, 1
	s_waitcnt lgkmcnt(0)
	ds_bpermute_b32 v1, v5, v0
	s_waitcnt lgkmcnt(0)
	v_add_f32_e32 v0, v0, v1
	ds_bpermute_b32 v1, v6, v0
	s_waitcnt lgkmcnt(0)
	v_add_f32_e32 v0, v0, v1
	ds_bpermute_b32 v1, v7, v0
	s_waitcnt lgkmcnt(0)
	v_add_f32_e32 v0, v0, v1
	ds_bpermute_b32 v1, v8, v0
	ds_read_u16 v4, v69
	ds_read_u16 v5, v69 offset:1792
	ds_read_u16 v6, v69 offset:1280
	;; [unrolled: 1-line block ×7, first 2 shown]
	s_waitcnt lgkmcnt(6)
	v_cvt_f32_f16_e32 v5, v5
	s_waitcnt lgkmcnt(5)
	v_cvt_f32_f16_e32 v6, v6
	;; [unrolled: 2-line block ×3, first 2 shown]
	v_add_f32_e32 v0, v0, v1
	v_cvt_f32_f16_e32 v1, v4
	s_waitcnt lgkmcnt(3)
	v_cvt_f32_f16_e32 v4, v8
	s_waitcnt lgkmcnt(2)
	;; [unrolled: 2-line block ×3, first 2 shown]
	v_cvt_f32_f16_e32 v9, v10
	ds_bpermute_b32 v3, v3, v0
	v_add_f32_e32 v1, 0, v1
	v_add_f32_e32 v4, 0, v4
	;; [unrolled: 1-line block ×4, first 2 shown]
	s_waitcnt lgkmcnt(1)
	v_cvt_f32_f16_e32 v7, v11
	v_add_f32_e32 v1, v1, v9
	v_add_f32_e32 v4, v4, v6
	;; [unrolled: 1-line block ×4, first 2 shown]
	s_waitcnt lgkmcnt(0)
	v_add_f32_e32 v3, v0, v3
	v_div_scale_f32 v0, null, v3, v3, v6
	v_div_scale_f32 v4, null, v3, v3, v7
	v_div_scale_f32 v10, vcc_lo, v6, v3, v6
	v_rcp_f32_e32 v5, v0
	v_rcp_f32_e32 v8, v4
	v_div_scale_f32 v11, s0, v7, v3, v7
	v_fma_f32 v1, -v0, v5, 1.0
	v_fma_f32 v9, -v4, v8, 1.0
	v_fmac_f32_e32 v5, v1, v5
	v_fmac_f32_e32 v8, v9, v8
	v_mul_f32_e32 v9, v10, v5
	v_mul_f32_e32 v12, v11, v8
	v_fma_f32 v1, -v0, v9, v10
	v_fma_f32 v13, -v4, v12, v11
	v_fmac_f32_e32 v9, v1, v5
	v_fmac_f32_e32 v12, v13, v8
	v_mov_b32_e32 v1, 0
	v_fma_f32 v10, -v0, v9, v10
	v_lshl_or_b32 v0, s2, 8, v68
	v_fma_f32 v4, -v4, v12, v11
	v_div_fmas_f32 v9, v10, v5, v9
	s_mov_b32 vcc_lo, s0
	v_div_fmas_f32 v8, v4, v8, v12
	v_lshlrev_b64 v[4:5], 2, v[0:1]
	v_div_fixup_f32 v0, v9, v3, v6
	v_cmp_eq_u32_e32 vcc_lo, 0, v68
	v_div_fixup_f32 v8, v8, v3, v7
	v_add_co_u32 v4, s0, s20, v4
	v_add_co_ci_u32_e64 v5, null, s21, v5, s0
	s_cselect_b32 s0, -1, 0
	s_cmp_lg_u32 s1, 1
	v_cndmask_b32_e64 v0, v6, v0, s0
	v_cndmask_b32_e64 v6, v7, v8, s0
	s_cselect_b32 s0, -1, 0
	s_and_b32 s0, vcc_lo, s0
	global_store_dword v[4:5], v0, off
	global_store_dword v[4:5], v6, off offset:512
	s_and_saveexec_b32 s1, s0
	s_cbranch_execz .LBB27_40
; %bb.39:
	s_lshl_b64 s[0:1], s[2:3], 3
	s_add_u32 s0, s22, s0
	s_addc_u32 s1, s23, s1
	global_store_dwordx2 v1, v[2:3], s[0:1]
.LBB27_40:
	s_endpgm
	.section	.rodata,"a",@progbits
	.p2align	6, 0x0
	.amdhsa_kernel _ZL18flash_attn_ext_vecILi256ELi1EL9ggml_type7ELS0_8ELb1EEvPKcS2_S2_S2_S2_PKiPfP15HIP_vector_typeIfLj2EEffffjfiS6_IjLj3EEiiiiiiiiiiiliiliiiiil
		.amdhsa_group_segment_fixed_size 2304
		.amdhsa_private_segment_fixed_size 0
		.amdhsa_kernarg_size 464
		.amdhsa_user_sgpr_count 6
		.amdhsa_user_sgpr_private_segment_buffer 1
		.amdhsa_user_sgpr_dispatch_ptr 0
		.amdhsa_user_sgpr_queue_ptr 0
		.amdhsa_user_sgpr_kernarg_segment_ptr 1
		.amdhsa_user_sgpr_dispatch_id 0
		.amdhsa_user_sgpr_flat_scratch_init 0
		.amdhsa_user_sgpr_private_segment_size 0
		.amdhsa_wavefront_size32 1
		.amdhsa_uses_dynamic_stack 0
		.amdhsa_system_sgpr_private_segment_wavefront_offset 0
		.amdhsa_system_sgpr_workgroup_id_x 1
		.amdhsa_system_sgpr_workgroup_id_y 1
		.amdhsa_system_sgpr_workgroup_id_z 1
		.amdhsa_system_sgpr_workgroup_info 0
		.amdhsa_system_vgpr_workitem_id 1
		.amdhsa_next_free_vgpr 160
		.amdhsa_next_free_sgpr 53
		.amdhsa_reserve_vcc 1
		.amdhsa_reserve_flat_scratch 0
		.amdhsa_float_round_mode_32 0
		.amdhsa_float_round_mode_16_64 0
		.amdhsa_float_denorm_mode_32 3
		.amdhsa_float_denorm_mode_16_64 3
		.amdhsa_dx10_clamp 1
		.amdhsa_ieee_mode 1
		.amdhsa_fp16_overflow 0
		.amdhsa_workgroup_processor_mode 1
		.amdhsa_memory_ordered 1
		.amdhsa_forward_progress 1
		.amdhsa_shared_vgpr_count 0
		.amdhsa_exception_fp_ieee_invalid_op 0
		.amdhsa_exception_fp_denorm_src 0
		.amdhsa_exception_fp_ieee_div_zero 0
		.amdhsa_exception_fp_ieee_overflow 0
		.amdhsa_exception_fp_ieee_underflow 0
		.amdhsa_exception_fp_ieee_inexact 0
		.amdhsa_exception_int_div_zero 0
	.end_amdhsa_kernel
	.section	.text._ZL18flash_attn_ext_vecILi256ELi1EL9ggml_type7ELS0_8ELb1EEvPKcS2_S2_S2_S2_PKiPfP15HIP_vector_typeIfLj2EEffffjfiS6_IjLj3EEiiiiiiiiiiiliiliiiiil,"axG",@progbits,_ZL18flash_attn_ext_vecILi256ELi1EL9ggml_type7ELS0_8ELb1EEvPKcS2_S2_S2_S2_PKiPfP15HIP_vector_typeIfLj2EEffffjfiS6_IjLj3EEiiiiiiiiiiiliiliiiiil,comdat
.Lfunc_end27:
	.size	_ZL18flash_attn_ext_vecILi256ELi1EL9ggml_type7ELS0_8ELb1EEvPKcS2_S2_S2_S2_PKiPfP15HIP_vector_typeIfLj2EEffffjfiS6_IjLj3EEiiiiiiiiiiiliiliiiiil, .Lfunc_end27-_ZL18flash_attn_ext_vecILi256ELi1EL9ggml_type7ELS0_8ELb1EEvPKcS2_S2_S2_S2_PKiPfP15HIP_vector_typeIfLj2EEffffjfiS6_IjLj3EEiiiiiiiiiiiliiliiiiil
                                        ; -- End function
	.set _ZL18flash_attn_ext_vecILi256ELi1EL9ggml_type7ELS0_8ELb1EEvPKcS2_S2_S2_S2_PKiPfP15HIP_vector_typeIfLj2EEffffjfiS6_IjLj3EEiiiiiiiiiiiliiliiiiil.num_vgpr, 160
	.set _ZL18flash_attn_ext_vecILi256ELi1EL9ggml_type7ELS0_8ELb1EEvPKcS2_S2_S2_S2_PKiPfP15HIP_vector_typeIfLj2EEffffjfiS6_IjLj3EEiiiiiiiiiiiliiliiiiil.num_agpr, 0
	.set _ZL18flash_attn_ext_vecILi256ELi1EL9ggml_type7ELS0_8ELb1EEvPKcS2_S2_S2_S2_PKiPfP15HIP_vector_typeIfLj2EEffffjfiS6_IjLj3EEiiiiiiiiiiiliiliiiiil.numbered_sgpr, 53
	.set _ZL18flash_attn_ext_vecILi256ELi1EL9ggml_type7ELS0_8ELb1EEvPKcS2_S2_S2_S2_PKiPfP15HIP_vector_typeIfLj2EEffffjfiS6_IjLj3EEiiiiiiiiiiiliiliiiiil.num_named_barrier, 0
	.set _ZL18flash_attn_ext_vecILi256ELi1EL9ggml_type7ELS0_8ELb1EEvPKcS2_S2_S2_S2_PKiPfP15HIP_vector_typeIfLj2EEffffjfiS6_IjLj3EEiiiiiiiiiiiliiliiiiil.private_seg_size, 0
	.set _ZL18flash_attn_ext_vecILi256ELi1EL9ggml_type7ELS0_8ELb1EEvPKcS2_S2_S2_S2_PKiPfP15HIP_vector_typeIfLj2EEffffjfiS6_IjLj3EEiiiiiiiiiiiliiliiiiil.uses_vcc, 1
	.set _ZL18flash_attn_ext_vecILi256ELi1EL9ggml_type7ELS0_8ELb1EEvPKcS2_S2_S2_S2_PKiPfP15HIP_vector_typeIfLj2EEffffjfiS6_IjLj3EEiiiiiiiiiiiliiliiiiil.uses_flat_scratch, 0
	.set _ZL18flash_attn_ext_vecILi256ELi1EL9ggml_type7ELS0_8ELb1EEvPKcS2_S2_S2_S2_PKiPfP15HIP_vector_typeIfLj2EEffffjfiS6_IjLj3EEiiiiiiiiiiiliiliiiiil.has_dyn_sized_stack, 0
	.set _ZL18flash_attn_ext_vecILi256ELi1EL9ggml_type7ELS0_8ELb1EEvPKcS2_S2_S2_S2_PKiPfP15HIP_vector_typeIfLj2EEffffjfiS6_IjLj3EEiiiiiiiiiiiliiliiiiil.has_recursion, 0
	.set _ZL18flash_attn_ext_vecILi256ELi1EL9ggml_type7ELS0_8ELb1EEvPKcS2_S2_S2_S2_PKiPfP15HIP_vector_typeIfLj2EEffffjfiS6_IjLj3EEiiiiiiiiiiiliiliiiiil.has_indirect_call, 0
	.section	.AMDGPU.csdata,"",@progbits
; Kernel info:
; codeLenInByte = 26324
; TotalNumSgprs: 55
; NumVgprs: 160
; ScratchSize: 0
; MemoryBound: 0
; FloatMode: 240
; IeeeMode: 1
; LDSByteSize: 2304 bytes/workgroup (compile time only)
; SGPRBlocks: 0
; VGPRBlocks: 19
; NumSGPRsForWavesPerEU: 55
; NumVGPRsForWavesPerEU: 160
; Occupancy: 6
; WaveLimiterHint : 0
; COMPUTE_PGM_RSRC2:SCRATCH_EN: 0
; COMPUTE_PGM_RSRC2:USER_SGPR: 6
; COMPUTE_PGM_RSRC2:TRAP_HANDLER: 0
; COMPUTE_PGM_RSRC2:TGID_X_EN: 1
; COMPUTE_PGM_RSRC2:TGID_Y_EN: 1
; COMPUTE_PGM_RSRC2:TGID_Z_EN: 1
; COMPUTE_PGM_RSRC2:TIDIG_COMP_CNT: 1
	.section	.text._ZL18flash_attn_ext_vecILi256ELi2EL9ggml_type7ELS0_8ELb0EEvPKcS2_S2_S2_S2_PKiPfP15HIP_vector_typeIfLj2EEffffjfiS6_IjLj3EEiiiiiiiiiiiliiliiiiil,"axG",@progbits,_ZL18flash_attn_ext_vecILi256ELi2EL9ggml_type7ELS0_8ELb0EEvPKcS2_S2_S2_S2_PKiPfP15HIP_vector_typeIfLj2EEffffjfiS6_IjLj3EEiiiiiiiiiiiliiliiiiil,comdat
	.globl	_ZL18flash_attn_ext_vecILi256ELi2EL9ggml_type7ELS0_8ELb0EEvPKcS2_S2_S2_S2_PKiPfP15HIP_vector_typeIfLj2EEffffjfiS6_IjLj3EEiiiiiiiiiiiliiliiiiil ; -- Begin function _ZL18flash_attn_ext_vecILi256ELi2EL9ggml_type7ELS0_8ELb0EEvPKcS2_S2_S2_S2_PKiPfP15HIP_vector_typeIfLj2EEffffjfiS6_IjLj3EEiiiiiiiiiiiliiliiiiil
	.p2align	8
	.type	_ZL18flash_attn_ext_vecILi256ELi2EL9ggml_type7ELS0_8ELb0EEvPKcS2_S2_S2_S2_PKiPfP15HIP_vector_typeIfLj2EEffffjfiS6_IjLj3EEiiiiiiiiiiiliiliiiiil,@function
_ZL18flash_attn_ext_vecILi256ELi2EL9ggml_type7ELS0_8ELb0EEvPKcS2_S2_S2_S2_PKiPfP15HIP_vector_typeIfLj2EEffffjfiS6_IjLj3EEiiiiiiiiiiiliiliiiiil: ; @_ZL18flash_attn_ext_vecILi256ELi2EL9ggml_type7ELS0_8ELb0EEvPKcS2_S2_S2_S2_PKiPfP15HIP_vector_typeIfLj2EEffffjfiS6_IjLj3EEiiiiiiiiiiiliiliiiiil
; %bb.0:
	s_clause 0x2
	s_load_dwordx2 s[36:37], s[6:7], 0x64
	s_load_dwordx2 s[40:41], s[6:7], 0x80
	;; [unrolled: 1-line block ×3, first 2 shown]
	s_mov_b64 s[54:55], s[2:3]
	s_mov_b64 s[52:53], s[0:1]
	s_mov_b32 s34, s9
	s_add_u32 s52, s52, s11
	s_addc_u32 s53, s53, 0
	s_load_dwordx4 s[28:31], s[6:7], 0x40
	v_mov_b32_e32 v38, v1
	v_mov_b32_e32 v41, v0
	v_mov_b32_e32 v127, 1.0
	s_waitcnt lgkmcnt(0)
	v_cvt_f32_u32_e32 v3, s37
	s_sub_i32 s1, 0, s37
	v_rcp_iflag_f32_e32 v3, v3
	v_mul_f32_e32 v3, 0x4f7ffffe, v3
	v_cvt_u32_f32_e32 v3, v3
	v_readfirstlane_b32 s0, v3
	s_mul_i32 s1, s1, s0
	s_mul_hi_u32 s1, s0, s1
	s_add_i32 s0, s0, s1
	s_mul_hi_u32 s0, s10, s0
	s_mul_i32 s1, s0, s37
	s_add_i32 s2, s0, 1
	s_sub_i32 s1, s10, s1
	s_sub_i32 s3, s1, s37
	s_cmp_ge_u32 s1, s37
	s_cselect_b32 s0, s2, s0
	s_cselect_b32 s1, s3, s1
	s_add_i32 s2, s0, 1
	s_cmp_ge_u32 s1, s37
	s_cselect_b32 s33, s2, s0
	s_abs_i32 s0, s41
	s_abs_i32 s9, s37
	v_cvt_f32_u32_e32 v3, s0
	s_sub_i32 s2, 0, s0
	s_xor_b32 s3, s37, s41
	s_ashr_i32 s3, s3, 31
	v_rcp_iflag_f32_e32 v3, v3
	v_mul_f32_e32 v3, 0x4f7ffffe, v3
	v_cvt_u32_f32_e32 v3, v3
	v_readfirstlane_b32 s1, v3
	s_mul_i32 s2, s2, s1
	s_mul_hi_u32 s2, s1, s2
	s_add_i32 s1, s1, s2
	s_mul_i32 s2, s33, s37
	s_mul_hi_u32 s1, s9, s1
	s_sub_i32 s38, s10, s2
	s_mul_i32 s11, s1, s0
	s_sub_i32 s2, s9, s11
	s_add_i32 s9, s1, 1
	s_sub_i32 s10, s2, s0
	s_cmp_ge_u32 s2, s0
	s_cselect_b32 s1, s9, s1
	s_cselect_b32 s2, s10, s2
	s_add_i32 s9, s1, 1
	s_cmp_ge_u32 s2, s0
	s_cselect_b32 s0, s9, s1
	s_abs_i32 s41, s42
	s_xor_b32 s0, s0, s3
	v_cvt_f32_u32_e32 v3, s41
	s_sub_i32 s44, s0, s3
	s_load_dword s0, s[6:7], 0x50
	s_abs_i32 s42, s44
	v_cmp_le_f32_e64 s1, s29, 0
	v_cvt_f32_u32_e32 v4, s42
	v_rcp_iflag_f32_e32 v3, v3
	s_and_b32 vcc_lo, exec_lo, s1
	v_rcp_iflag_f32_e32 v4, v4
	v_mul_f32_e32 v3, 0x4f7ffffe, v3
	v_mul_f32_e32 v4, 0x4f7ffffe, v4
	v_cvt_u32_f32_e32 v3, v3
	v_cvt_u32_f32_e32 v4, v4
	v_readfirstlane_b32 s45, v3
	v_readfirstlane_b32 s46, v4
	s_cbranch_vccnz .LBB28_2
; %bb.1:
	s_waitcnt lgkmcnt(0)
	v_sub_co_u32 v4, vcc_lo, s38, s0
	v_mov_b32_e32 v3, s30
	s_add_i32 s0, s38, 1
	v_lshlrev_b32_e32 v4, 1, v4
	v_cndmask_b32_e32 v3, s31, v3, vcc_lo
	v_or_b32_e32 v4, 1, v4
	v_cndmask_b32_e64 v4, v4, s0, vcc_lo
	v_cmp_neq_f32_e32 vcc_lo, 1.0, v3
	s_mov_b32 s0, 0x3e76c4e1
	v_cvt_f32_i32_e32 v4, v4
	v_cndmask_b32_e32 v5, 1.0, v4, vcc_lo
	v_cmp_neq_f32_e32 vcc_lo, 0, v5
	v_cndmask_b32_e32 v6, 1.0, v3, vcc_lo
	v_frexp_mant_f32_e64 v3, |v6|
	v_cmp_eq_f32_e64 s2, 0, v6
	v_cmp_gt_f32_e32 vcc_lo, 0x3f2aaaab, v3
	v_cndmask_b32_e64 v4, 1.0, 2.0, vcc_lo
	v_mul_f32_e32 v3, v3, v4
	v_add_f32_e32 v4, 1.0, v3
	v_add_f32_e32 v8, -1.0, v3
	v_rcp_f32_e32 v7, v4
	v_add_f32_e32 v10, -1.0, v4
	v_sub_f32_e32 v3, v3, v10
	v_mul_f32_e32 v9, v8, v7
	v_mul_f32_e32 v11, v4, v9
	v_fma_f32 v4, v9, v4, -v11
	v_fmac_f32_e32 v4, v9, v3
	v_add_f32_e32 v3, v11, v4
	v_sub_f32_e32 v10, v8, v3
	v_sub_f32_e32 v11, v3, v11
	;; [unrolled: 1-line block ×5, first 2 shown]
	v_add_f32_e32 v3, v4, v3
	v_add_f32_e32 v3, v10, v3
	v_mul_f32_e32 v3, v7, v3
	v_add_f32_e32 v7, v9, v3
	v_sub_f32_e32 v4, v7, v9
	v_mul_f32_e32 v8, v7, v7
	v_sub_f32_e32 v9, v3, v4
	v_fma_f32 v3, v7, v7, -v8
	v_add_f32_e32 v4, v9, v9
	v_fmac_f32_e32 v3, v7, v4
	v_add_f32_e32 v10, v8, v3
	v_fmaak_f32 v4, s0, v10, 0x3e91f4c4
	v_sub_f32_e32 v8, v10, v8
	v_mul_f32_e32 v15, v7, v10
	v_fmaak_f32 v4, v10, v4, 0x3ecccdef
	v_sub_f32_e32 v8, v3, v8
	v_fma_f32 v16, v10, v7, -v15
	v_mul_f32_e32 v11, v10, v4
	v_fmac_f32_e32 v16, v10, v9
	v_ldexp_f32 v9, v9, 1
	v_fma_f32 v12, v10, v4, -v11
	v_fmac_f32_e32 v16, v8, v7
	v_fmac_f32_e32 v12, v8, v4
	v_cvt_f64_f32_e64 v[3:4], |v6|
	v_add_f32_e32 v13, v11, v12
	v_sub_f32_e32 v11, v13, v11
	v_add_f32_e32 v14, 0x3f2aaaaa, v13
	v_sub_f32_e32 v11, v12, v11
	v_add_f32_e32 v12, 0xbf2aaaaa, v14
	v_add_f32_e32 v11, 0x31739010, v11
	v_sub_f32_e32 v12, v13, v12
	v_frexp_exp_i32_f64_e32 v3, v[3:4]
	v_add_f32_e32 v10, v11, v12
	v_add_f32_e32 v11, v15, v16
	;; [unrolled: 1-line block ×3, first 2 shown]
	v_sub_f32_e32 v13, v11, v15
	v_sub_f32_e32 v4, v14, v8
	v_mul_f32_e32 v12, v11, v8
	v_sub_f32_e32 v13, v16, v13
	v_add_f32_e32 v4, v10, v4
	v_fma_f32 v10, v11, v8, -v12
	v_subrev_co_ci_u32_e64 v3, null, 0, v3, vcc_lo
	v_fmac_f32_e32 v10, v11, v4
	v_ldexp_f32 v4, v7, 1
	v_cvt_f32_i32_e32 v3, v3
	v_fmac_f32_e32 v10, v13, v8
	v_add_f32_e32 v7, v12, v10
	v_add_f32_e32 v8, v4, v7
	v_sub_f32_e32 v11, v7, v12
	v_mul_f32_e32 v12, 0x3f317218, v3
	v_sub_f32_e32 v4, v8, v4
	v_sub_f32_e32 v10, v10, v11
	v_fma_f32 v11, 0x3f317218, v3, -v12
	v_sub_f32_e32 v4, v7, v4
	v_add_f32_e32 v7, v9, v10
	v_fmamk_f32 v3, v3, 0xb102e308, v11
	v_add_f32_e32 v4, v7, v4
	v_add_f32_e32 v7, v12, v3
	;; [unrolled: 1-line block ×3, first 2 shown]
	v_sub_f32_e32 v12, v7, v12
	v_add_f32_e32 v10, v7, v9
	v_sub_f32_e32 v8, v9, v8
	v_sub_f32_e32 v3, v3, v12
	;; [unrolled: 1-line block ×6, first 2 shown]
	v_add_f32_e32 v9, v3, v4
	v_sub_f32_e32 v7, v7, v13
	v_add_f32_e32 v7, v8, v7
	v_sub_f32_e32 v8, v9, v3
	;; [unrolled: 2-line block ×3, first 2 shown]
	v_sub_f32_e32 v4, v4, v8
	v_add_f32_e32 v11, v10, v7
	v_sub_f32_e32 v3, v3, v9
	v_sub_f32_e32 v8, v11, v10
	v_add_f32_e32 v3, v4, v3
	v_sub_f32_e32 v4, v7, v8
	v_add_f32_e32 v3, v3, v4
	v_add_f32_e32 v4, v11, v3
	v_sub_f32_e32 v7, v4, v11
	v_mul_f32_e32 v8, v5, v4
	v_sub_f32_e32 v3, v3, v7
	v_fma_f32 v4, v5, v4, -v8
	v_cmp_class_f32_e64 vcc_lo, v8, 0x204
	v_fmac_f32_e32 v4, v5, v3
	v_add_f32_e32 v3, v8, v4
	v_cndmask_b32_e32 v7, v3, v8, vcc_lo
	v_sub_f32_e32 v3, v3, v8
	v_cmp_eq_f32_e32 vcc_lo, 0x42b17218, v7
	v_sub_f32_e32 v3, v4, v3
	v_cndmask_b32_e64 v9, 0, 0x37000000, vcc_lo
	v_cmp_neq_f32_e64 vcc_lo, 0x7f800000, |v7|
	v_sub_f32_e32 v10, v7, v9
	v_cndmask_b32_e32 v3, 0, v3, vcc_lo
	v_trunc_f32_e32 v7, v5
	v_mul_f32_e32 v11, 0x3fb8aa3b, v10
	v_cmp_ngt_f32_e32 vcc_lo, 0xc2ce8ed0, v10
	v_add_f32_e32 v3, v9, v3
	v_fma_f32 v12, 0x3fb8aa3b, v10, -v11
	v_rndne_f32_e32 v13, v11
	v_fmamk_f32 v12, v10, 0x32a5705f, v12
	v_sub_f32_e32 v11, v11, v13
	v_cvt_i32_f32_e32 v8, v13
	v_add_f32_e32 v11, v11, v12
	v_exp_f32_e32 v11, v11
	v_ldexp_f32 v4, v11, v8
	v_mul_f32_e32 v8, 0.5, v5
	v_cndmask_b32_e32 v4, 0, v4, vcc_lo
	v_cmp_nlt_f32_e32 vcc_lo, 0x42b17218, v10
	v_trunc_f32_e32 v11, v8
	v_cndmask_b32_e32 v4, 0x7f800000, v4, vcc_lo
	v_cmp_eq_f32_e32 vcc_lo, v7, v5
	v_cmp_neq_f32_e64 s0, v11, v8
	v_fma_f32 v3, v4, v3, v4
	v_cmp_class_f32_e64 s1, v4, 0x204
	s_and_b32 s0, vcc_lo, s0
	v_cndmask_b32_e64 v7, 1.0, v6, s0
	v_cndmask_b32_e64 v3, v3, v4, s1
	v_cmp_gt_f32_e64 s1, 0, v5
	v_bfi_b32 v3, 0x7fffffff, v3, v7
	s_xor_b32 s1, s1, s2
	v_cndmask_b32_e64 v7, 0, v6, s0
	v_cndmask_b32_e64 v4, 0x7f800000, 0, s1
	v_cmp_class_f32_e64 s0, v6, 0x204
	v_cndmask_b32_e32 v5, 0x7fc00000, v3, vcc_lo
	v_cmp_gt_f32_e32 vcc_lo, 0, v6
	v_bfi_b32 v4, 0x7fffffff, v4, v7
	v_cndmask_b32_e32 v3, v3, v5, vcc_lo
	s_or_b32 vcc_lo, s2, s0
	v_cndmask_b32_e32 v3, v3, v4, vcc_lo
	v_cmp_o_f32_e32 vcc_lo, v6, v6
	v_cndmask_b32_e32 v127, 0x7fc00000, v3, vcc_lo
.LBB28_2:
	s_waitcnt lgkmcnt(0)
	s_load_dwordx2 s[0:1], s[4:5], 0x4
	s_load_dwordx16 s[12:27], s[6:7], 0x0
	v_mov_b32_e32 v30, 0
	v_lshlrev_b32_e32 v39, 9, v38
	v_lshlrev_b32_e32 v42, 2, v41
	s_lshl_b32 s35, s8, 1
	s_mov_b32 s5, exec_lo
	s_waitcnt lgkmcnt(0)
	v_mul_u32_u24_e32 v3, s1, v38
	s_lshr_b32 s0, s0, 16
	s_mul_i32 s0, s0, s1
	v_mad_u32_u24 v3, s0, v41, v3
	v_cmp_lt_u32_e64 s0, 1, v38
	v_add_lshl_u32 v35, v3, v2, 5
	v_add_nc_u32_e32 v2, 0xa04, v35
	v_add_nc_u32_e32 v3, 0xa0c, v35
	;; [unrolled: 1-line block ×4, first 2 shown]
	ds_write2_b32 v2, v30, v30 offset1:1
	ds_write2_b32 v3, v30, v30 offset1:1
	;; [unrolled: 1-line block ×3, first 2 shown]
	ds_write2_b32 v5, v30, v30 offset0:128 offset1:135
	v_cmpx_gt_u32_e32 2, v38
	s_cbranch_execz .LBB28_17
; %bb.3:
	v_lshl_add_u32 v4, v41, 3, v39
	v_sub_nc_u32_e32 v3, 0, v42
	v_or_b32_e32 v2, s35, v38
	v_or_b32_e32 v6, v39, v41
	s_mov_b32 s1, exec_lo
	v_add_nc_u32_e32 v7, v4, v3
	v_cmpx_le_i32_e64 s36, v2
	s_xor_b32 s1, exec_lo, s1
	s_cbranch_execz .LBB28_7
; %bb.4:
	v_mov_b32_e32 v2, 0
	v_mad_u32_u24 v3, v41, 3, v6
	s_mov_b32 s2, exec_lo
	ds_write_b32 v7, v2
	ds_write_b32 v3, v2 offset:128
	v_cmpx_gt_u32_e32 8, v41
; %bb.5:
	v_mov_b32_e32 v3, v2
	ds_write_b64 v4, v[2:3] offset:256
; %bb.6:
	s_or_b32 exec_lo, exec_lo, s2
                                        ; implicit-def: $vgpr7
                                        ; implicit-def: $vgpr6
.LBB28_7:
	s_andn2_saveexec_b32 s1, s1
	s_cbranch_execz .LBB28_17
; %bb.8:
	s_load_dwordx4 s[48:51], s[6:7], 0x70
	v_lshlrev_b32_e32 v3, 2, v42
	s_mov_b32 s4, exec_lo
	s_waitcnt lgkmcnt(0)
	v_mul_lo_u32 v2, s48, v38
	s_mul_i32 s1, s33, s50
	s_mul_i32 s2, s48, s35
	;; [unrolled: 1-line block ×3, first 2 shown]
	s_add_i32 s1, s1, s2
	s_add_i32 s1, s1, s3
	s_ashr_i32 s2, s1, 31
	v_ashrrev_i32_e32 v4, 31, v2
	s_add_u32 s1, s12, s1
	s_addc_u32 s2, s13, s2
	v_add_co_u32 v2, vcc_lo, s1, v2
	v_add_co_ci_u32_e64 v4, null, s2, v4, vcc_lo
	v_add_co_u32 v2, vcc_lo, v2, v3
	v_add_co_ci_u32_e64 v3, null, 0, v4, vcc_lo
	v_mbcnt_lo_u32_b32 v4, -1, 0
	global_load_dwordx4 v[16:19], v[2:3], off
	v_xor_b32_e32 v5, 4, v4
	v_xor_b32_e32 v10, 2, v4
	;; [unrolled: 1-line block ×3, first 2 shown]
	v_cmp_gt_i32_e32 vcc_lo, 32, v5
	v_cndmask_b32_e32 v5, v4, v5, vcc_lo
	v_cmp_gt_i32_e32 vcc_lo, 32, v10
	v_lshlrev_b32_e32 v8, 2, v5
	v_cndmask_b32_e32 v10, v4, v10, vcc_lo
	v_cmp_gt_i32_e32 vcc_lo, 32, v12
	v_lshlrev_b32_e32 v10, 2, v10
	v_cndmask_b32_e32 v4, v4, v12, vcc_lo
	s_waitcnt vmcnt(0)
	v_mul_f32_e32 v11, s28, v16
	v_mul_f32_e32 v13, s28, v17
	;; [unrolled: 1-line block ×4, first 2 shown]
	v_max_f32_e64 v9, |v11|, |v13|
	v_max3_f32 v5, v9, |v15|, |v14|
	ds_bpermute_b32 v9, v8, v5
	s_waitcnt lgkmcnt(0)
	v_max_f32_e32 v9, v9, v9
	v_max_f32_e32 v5, v5, v9
	ds_bpermute_b32 v9, v10, v5
	s_waitcnt lgkmcnt(0)
	v_max_f32_e32 v12, v9, v9
	v_lshlrev_b32_e32 v9, 2, v4
	v_max_f32_e32 v4, v5, v12
	v_fma_f32 v12, s28, v16, v13
	ds_bpermute_b32 v5, v9, v4
	v_fmac_f32_e32 v12, s28, v18
	v_fmac_f32_e32 v12, s28, v19
	ds_bpermute_b32 v16, v8, v12
	s_waitcnt lgkmcnt(1)
	v_max_f32_e32 v5, v5, v5
	v_max_f32_e32 v4, v4, v5
	v_div_scale_f32 v17, null, 0x42fe0000, 0x42fe0000, v4
	s_waitcnt lgkmcnt(0)
	v_add_f32_e32 v5, v12, v16
	v_div_scale_f32 v19, vcc_lo, v4, 0x42fe0000, v4
	v_rcp_f32_e32 v18, v17
	ds_bpermute_b32 v16, v10, v5
	v_fma_f32 v12, -v17, v18, 1.0
	v_fmac_f32_e32 v18, v12, v18
	v_mul_f32_e32 v20, v19, v18
	s_waitcnt lgkmcnt(0)
	v_add_f32_e32 v5, v5, v16
	v_fma_f32 v12, -v17, v20, v19
	v_fmac_f32_e32 v20, v12, v18
	ds_bpermute_b32 v12, v9, v5
	v_fma_f32 v16, -v17, v20, v19
	v_div_fmas_f32 v16, v16, v18, v20
	v_div_fixup_f32 v4, v16, 0x42fe0000, v4
	v_mov_b32_e32 v16, 0
	v_cmpx_neq_f32_e32 0, v4
	s_cbranch_execz .LBB28_10
; %bb.9:
	v_div_scale_f32 v16, null, v4, v4, v11
	v_div_scale_f32 v17, null, v4, v4, v13
	;; [unrolled: 1-line block ×3, first 2 shown]
	v_rcp_f32_e32 v18, v16
	v_div_scale_f32 v20, null, v4, v4, v14
	v_rcp_f32_e32 v21, v17
	v_rcp_f32_e32 v22, v19
	v_div_scale_f32 v26, vcc_lo, v11, v4, v11
	v_rcp_f32_e32 v23, v20
	v_fma_f32 v24, -v16, v18, 1.0
	v_fma_f32 v25, -v17, v21, 1.0
	;; [unrolled: 1-line block ×3, first 2 shown]
	v_fmac_f32_e32 v18, v24, v18
	v_div_scale_f32 v24, s1, v13, v4, v13
	v_fma_f32 v28, -v20, v23, 1.0
	v_fmac_f32_e32 v21, v25, v21
	v_fmac_f32_e32 v22, v27, v22
	v_div_scale_f32 v25, s2, v15, v4, v15
	v_fmac_f32_e32 v23, v28, v23
	v_mul_f32_e32 v28, v26, v18
	v_mul_f32_e32 v29, v24, v21
	;; [unrolled: 1-line block ×3, first 2 shown]
	v_div_scale_f32 v27, s3, v14, v4, v14
	v_fma_f32 v33, -v16, v28, v26
	v_fma_f32 v34, -v17, v29, v24
	;; [unrolled: 1-line block ×3, first 2 shown]
	v_mul_f32_e32 v32, v27, v23
	v_fmac_f32_e32 v28, v33, v18
	v_fmac_f32_e32 v29, v34, v21
	;; [unrolled: 1-line block ×3, first 2 shown]
	v_fma_f32 v37, -v20, v32, v27
	v_fma_f32 v16, -v16, v28, v26
	;; [unrolled: 1-line block ×4, first 2 shown]
	v_fmac_f32_e32 v32, v37, v23
	v_div_fmas_f32 v16, v16, v18, v28
	s_mov_b32 vcc_lo, s1
	v_div_fmas_f32 v17, v17, v21, v29
	s_mov_b32 vcc_lo, s2
	v_div_fixup_f32 v11, v16, v4, v11
	v_div_fmas_f32 v18, v19, v22, v31
	v_fma_f32 v19, -v20, v32, v27
	s_mov_b32 vcc_lo, s3
	v_div_fixup_f32 v13, v17, v4, v13
	v_div_fixup_f32 v15, v18, v4, v15
	v_div_fmas_f32 v18, v19, v23, v32
	v_trunc_f32_e32 v17, v13
	v_trunc_f32_e32 v19, v15
	v_div_fixup_f32 v14, v18, v4, v14
	v_trunc_f32_e32 v18, v11
	v_sub_f32_e32 v21, v13, v17
	v_sub_f32_e32 v16, v15, v19
	v_trunc_f32_e32 v20, v14
	v_sub_f32_e32 v23, v11, v18
	v_cmp_ge_f32_e64 s1, |v16|, 0.5
	v_sub_f32_e32 v22, v14, v20
	v_cndmask_b32_e64 v16, 0, 1.0, s1
	v_cmp_ge_f32_e64 s1, |v21|, 0.5
	v_bfi_b32 v15, 0x7fffffff, v16, v15
	v_cndmask_b32_e64 v16, 0, 1.0, s1
	v_cmp_ge_f32_e64 s1, |v22|, 0.5
	v_add_f32_e32 v15, v19, v15
	v_bfi_b32 v13, 0x7fffffff, v16, v13
	v_cndmask_b32_e64 v21, 0, 1.0, s1
	v_cmp_ge_f32_e64 s1, |v23|, 0.5
	v_mov_b32_e32 v16, 8
	v_cvt_i32_f32_e32 v15, v15
	v_add_f32_e32 v13, v17, v13
	v_bfi_b32 v14, 0x7fffffff, v21, v14
	v_cndmask_b32_e64 v19, 0, 1.0, s1
	v_and_b32_e32 v15, 0xff, v15
	v_cvt_i32_f32_e32 v13, v13
	v_add_f32_e32 v14, v20, v14
	v_bfi_b32 v11, 0x7fffffff, v19, v11
	v_lshlrev_b32_e32 v15, 16, v15
	v_lshlrev_b32_sdwa v13, v16, v13 dst_sel:DWORD dst_unused:UNUSED_PAD src0_sel:DWORD src1_sel:BYTE_0
	v_cvt_i32_f32_e32 v14, v14
	v_add_f32_e32 v11, v18, v11
	v_lshl_or_b32 v14, v14, 24, v15
	v_cvt_i32_f32_e32 v11, v11
	v_and_b32_e32 v11, 0xff, v11
	v_or3_b32 v16, v14, v13, v11
.LBB28_10:
	s_or_b32 exec_lo, exec_lo, s4
	v_and_b32_e32 v11, 7, v41
	ds_write_b32 v7, v16
	v_cmp_eq_u32_e64 s1, 0, v11
	s_and_saveexec_b32 s2, s1
	s_cbranch_execz .LBB28_12
; %bb.11:
	s_waitcnt lgkmcnt(1)
	v_add_f32_e32 v5, v5, v12
	ds_write_b64 v6, v[4:5] offset:256
.LBB28_12:
	s_or_b32 exec_lo, exec_lo, s2
	global_load_dwordx4 v[14:17], v[2:3], off offset:512
	s_mov_b32 s9, exec_lo
	s_waitcnt vmcnt(0)
	v_mul_f32_e32 v5, s28, v14
	v_mul_f32_e32 v11, s28, v15
	;; [unrolled: 1-line block ×3, first 2 shown]
	s_waitcnt lgkmcnt(1)
	v_mul_f32_e32 v12, s28, v17
	v_max_f32_e64 v2, |v5|, |v11|
	v_fma_f32 v4, s28, v14, v11
	v_max3_f32 v2, v2, |v13|, |v12|
	v_fmac_f32_e32 v4, s28, v16
	ds_bpermute_b32 v3, v8, v2
	v_fmac_f32_e32 v4, s28, v17
	ds_bpermute_b32 v8, v8, v4
	s_waitcnt lgkmcnt(1)
	v_max_f32_e32 v3, v3, v3
	v_max_f32_e32 v2, v2, v3
	ds_bpermute_b32 v3, v10, v2
	s_waitcnt lgkmcnt(0)
	v_max_f32_e32 v3, v3, v3
	v_max_f32_e32 v2, v2, v3
	;; [unrolled: 4-line block ×3, first 2 shown]
	v_add_f32_e32 v3, v4, v8
	v_div_scale_f32 v14, null, 0x42fe0000, 0x42fe0000, v2
	ds_bpermute_b32 v8, v10, v3
	v_div_scale_f32 v10, vcc_lo, v2, 0x42fe0000, v2
	v_rcp_f32_e32 v15, v14
	v_fma_f32 v4, -v14, v15, 1.0
	v_fmac_f32_e32 v15, v4, v15
	s_waitcnt lgkmcnt(0)
	v_add_f32_e32 v3, v3, v8
	v_mul_f32_e32 v16, v10, v15
	v_fma_f32 v4, -v14, v16, v10
	v_fmac_f32_e32 v16, v4, v15
	ds_bpermute_b32 v4, v9, v3
	v_fma_f32 v8, -v14, v16, v10
	v_div_fmas_f32 v8, v8, v15, v16
	v_div_fixup_f32 v2, v8, 0x42fe0000, v2
	v_mov_b32_e32 v8, 0
	v_cmpx_neq_f32_e32 0, v2
	s_cbranch_execz .LBB28_14
; %bb.13:
	v_div_scale_f32 v8, null, v2, v2, v5
	v_div_scale_f32 v9, null, v2, v2, v11
	;; [unrolled: 1-line block ×3, first 2 shown]
	v_rcp_f32_e32 v10, v8
	v_div_scale_f32 v15, null, v2, v2, v12
	v_rcp_f32_e32 v16, v9
	v_rcp_f32_e32 v17, v14
	v_div_scale_f32 v21, vcc_lo, v5, v2, v5
	v_rcp_f32_e32 v18, v15
	v_fma_f32 v19, -v8, v10, 1.0
	v_fma_f32 v20, -v9, v16, 1.0
	;; [unrolled: 1-line block ×3, first 2 shown]
	v_fmac_f32_e32 v10, v19, v10
	v_div_scale_f32 v19, s2, v11, v2, v11
	v_fma_f32 v23, -v15, v18, 1.0
	v_fmac_f32_e32 v16, v20, v16
	v_fmac_f32_e32 v17, v22, v17
	v_div_scale_f32 v20, s3, v13, v2, v13
	v_fmac_f32_e32 v18, v23, v18
	v_mul_f32_e32 v23, v21, v10
	v_mul_f32_e32 v24, v19, v16
	;; [unrolled: 1-line block ×3, first 2 shown]
	v_div_scale_f32 v22, s4, v12, v2, v12
	v_fma_f32 v27, -v8, v23, v21
	v_fma_f32 v28, -v9, v24, v19
	;; [unrolled: 1-line block ×3, first 2 shown]
	v_mul_f32_e32 v26, v22, v18
	v_fmac_f32_e32 v23, v27, v10
	v_fmac_f32_e32 v24, v28, v16
	;; [unrolled: 1-line block ×3, first 2 shown]
	v_fma_f32 v31, -v15, v26, v22
	v_fma_f32 v8, -v8, v23, v21
	;; [unrolled: 1-line block ×4, first 2 shown]
	v_fmac_f32_e32 v26, v31, v18
	v_div_fmas_f32 v8, v8, v10, v23
	s_mov_b32 vcc_lo, s2
	v_div_fmas_f32 v9, v9, v16, v24
	s_mov_b32 vcc_lo, s3
	v_div_fixup_f32 v5, v8, v2, v5
	v_div_fmas_f32 v10, v14, v17, v25
	v_fma_f32 v14, -v15, v26, v22
	s_mov_b32 vcc_lo, s4
	v_div_fixup_f32 v9, v9, v2, v11
	v_div_fixup_f32 v10, v10, v2, v13
	v_div_fmas_f32 v13, v14, v18, v26
	v_trunc_f32_e32 v14, v10
	v_div_fixup_f32 v8, v13, v2, v12
	v_trunc_f32_e32 v12, v9
	v_trunc_f32_e32 v13, v5
	v_sub_f32_e32 v11, v10, v14
	v_trunc_f32_e32 v15, v8
	v_sub_f32_e32 v16, v9, v12
	v_sub_f32_e32 v18, v5, v13
	v_cmp_ge_f32_e64 s2, |v11|, 0.5
	v_sub_f32_e32 v17, v8, v15
	v_cndmask_b32_e64 v11, 0, 1.0, s2
	v_cmp_ge_f32_e64 s2, |v16|, 0.5
	v_bfi_b32 v10, 0x7fffffff, v11, v10
	v_cndmask_b32_e64 v11, 0, 1.0, s2
	v_cmp_ge_f32_e64 s2, |v17|, 0.5
	v_add_f32_e32 v10, v14, v10
	v_bfi_b32 v9, 0x7fffffff, v11, v9
	v_cndmask_b32_e64 v16, 0, 1.0, s2
	v_cmp_ge_f32_e64 s2, |v18|, 0.5
	v_mov_b32_e32 v11, 8
	v_cvt_i32_f32_e32 v10, v10
	v_add_f32_e32 v9, v12, v9
	v_bfi_b32 v8, 0x7fffffff, v16, v8
	v_cndmask_b32_e64 v14, 0, 1.0, s2
	v_and_b32_e32 v10, 0xff, v10
	v_cvt_i32_f32_e32 v9, v9
	v_add_f32_e32 v8, v15, v8
	v_bfi_b32 v5, 0x7fffffff, v14, v5
	v_lshlrev_b32_e32 v10, 16, v10
	v_lshlrev_b32_sdwa v9, v11, v9 dst_sel:DWORD dst_unused:UNUSED_PAD src0_sel:DWORD src1_sel:BYTE_0
	v_cvt_i32_f32_e32 v8, v8
	v_add_f32_e32 v5, v13, v5
	v_lshl_or_b32 v8, v8, 24, v10
	v_cvt_i32_f32_e32 v5, v5
	v_and_b32_e32 v5, 0xff, v5
	v_or3_b32 v8, v8, v9, v5
.LBB28_14:
	s_or_b32 exec_lo, exec_lo, s9
	ds_write_b32 v7, v8 offset:128
	s_and_saveexec_b32 s2, s1
	s_cbranch_execz .LBB28_16
; %bb.15:
	s_waitcnt lgkmcnt(1)
	v_add_f32_e32 v3, v3, v4
	ds_write_b64 v6, v[2:3] offset:288
.LBB28_16:
	s_or_b32 exec_lo, exec_lo, s2
.LBB28_17:
	s_or_b32 exec_lo, exec_lo, s5
	v_and_b32_e32 v34, 1, v41
	s_waitcnt lgkmcnt(0)
	s_barrier
	buffer_gl0_inv
	s_cmp_eq_u64 s[22:23], 0
	v_lshlrev_b32_e32 v131, 2, v34
	s_mov_b32 s39, s40
	ds_read2_b32 v[48:49], v131 offset1:2
	ds_read2_b32 v[50:51], v131 offset0:4 offset1:6
	ds_read2_b32 v[52:53], v131 offset0:8 offset1:10
	;; [unrolled: 1-line block ×31, first 2 shown]
	ds_read_b128 v[2:5], v30 offset:256
	ds_read_b128 v[6:9], v30 offset:272
	;; [unrolled: 1-line block ×8, first 2 shown]
	s_waitcnt lgkmcnt(0)
	s_barrier
	buffer_gl0_inv
	s_cbranch_scc1 .LBB28_19
; %bb.18:
	s_load_dword s1, s[6:7], 0xd0
	s_mov_b32 s3, 0
	s_waitcnt lgkmcnt(0)
	s_mul_i32 s1, s1, s33
	s_add_i32 s2, s1, s8
	s_lshl_b64 s[2:3], s[2:3], 2
	s_add_u32 s2, s22, s2
	s_addc_u32 s3, s23, s3
	s_load_dword s39, s[2:3], 0x0
.LBB28_19:
	v_lshlrev_b32_e32 v36, 5, v38
	v_add_nc_u32_e32 v129, 0xa00, v35
	s_mov_b32 s12, 0xfeffffff
	s_mov_b32 s22, 0
	;; [unrolled: 1-line block ×3, first 2 shown]
	v_add_nc_u32_e32 v35, v36, v41
	s_mov_b32 s23, s22
	v_mov_b32_e32 v117, s13
	v_mov_b32_e32 v47, s23
	v_mov_b32_e32 v116, s12
	v_mov_b32_e32 v46, s22
	v_mbcnt_lo_u32_b32 v43, -1, 0
	v_lshlrev_b32_e32 v128, 1, v35
	s_lshl_b32 s2, s34, 7
	s_waitcnt lgkmcnt(0)
	s_cmp_ge_i32 s2, s39
	s_cbranch_scc1 .LBB28_31
; %bb.20:
	buffer_store_dword v35, off, s[52:55], 0 offset:36 ; 4-byte Folded Spill
	buffer_store_dword v39, off, s[52:55], 0 offset:28 ; 4-byte Folded Spill
	buffer_store_dword v38, off, s[52:55], 0 offset:24 ; 4-byte Folded Spill
	s_clause 0x1
	s_load_dwordx4 s[8:11], s[6:7], 0x98
	s_load_dwordx2 s[28:29], s[6:7], 0x8c
	s_sub_i32 s1, 0, s42
	s_sub_i32 s4, 0, s41
	s_mul_i32 s1, s1, s46
	s_abs_i32 s5, s38
	s_mul_hi_u32 s1, s46, s1
	s_mul_i32 s4, s4, s45
	s_add_i32 s46, s46, s1
	s_ashr_i32 s48, s38, 31
	s_ashr_i32 s44, s44, 31
	;; [unrolled: 1-line block ×3, first 2 shown]
	s_mul_hi_u32 s1, s45, s4
	s_mul_hi_u32 s4, s5, s46
	s_xor_b32 s44, s48, s44
	s_add_i32 s45, s45, s1
	s_mul_i32 s1, s4, s42
	s_load_dwordx2 s[30:31], s[6:7], 0xa8
	s_sub_i32 s1, s5, s1
	s_abs_i32 s47, s33
	s_waitcnt lgkmcnt(0)
	v_mul_lo_u32 v132, v36, s10
	s_mul_hi_u32 s46, s8, s33
	s_mul_i32 s48, s8, s3
	s_mul_i32 s9, s9, s33
	s_add_i32 s46, s46, s48
	s_add_i32 s5, s4, 1
	s_add_i32 s46, s46, s9
	s_sub_i32 s9, s1, s42
	v_add_nc_u32_e32 v133, s10, v132
	s_cmp_ge_u32 s1, s42
	s_mul_i32 s8, s8, s33
	s_cselect_b32 s4, s5, s4
	s_cselect_b32 s1, s9, s1
	v_add_nc_u32_e32 v134, s10, v133
	s_add_i32 s5, s4, 1
	s_cmp_ge_u32 s1, s42
	v_and_b32_e32 v35, 0x7e, v41
	s_cselect_b32 s1, s5, s4
	v_add_nc_u32_e32 v135, s10, v134
	s_xor_b32 s9, s1, s44
	s_mul_hi_u32 s42, s30, s33
	s_sub_i32 s9, s9, s44
	s_clause 0x1
	s_load_dwordx2 s[4:5], s[6:7], 0xc8
	s_load_dword s1, s[6:7], 0xd4
	v_add_nc_u32_e32 v136, s10, v135
	s_mul_i32 s29, s9, s29
	s_mul_i32 s9, s9, s11
	s_ashr_i32 s44, s29, 31
	s_add_u32 s8, s14, s8
	v_add_nc_u32_e32 v137, s10, v136
	s_addc_u32 s14, s15, s46
	s_mul_i32 s15, s30, s3
	s_add_u32 s8, s8, s29
	s_addc_u32 s29, s14, s44
	v_add_nc_u32_e32 v138, s10, v137
	s_add_i32 s14, s42, s15
	s_mul_i32 s15, s31, s33
	s_mul_i32 s11, s30, s33
	s_mul_hi_u32 s31, s47, s45
	v_add_nc_u32_e32 v139, s10, v138
	s_add_i32 s14, s14, s15
	s_ashr_i32 s15, s9, 31
	s_add_u32 s11, s16, s11
	s_addc_u32 s14, s17, s14
	v_add_nc_u32_e32 v140, s10, v139
	s_mul_i32 s31, s31, s41
	s_add_u32 s9, s11, s9
	s_addc_u32 s11, s14, s15
	s_sub_i32 s14, s47, s31
	v_add_nc_u32_e32 v141, s10, v140
	s_sub_i32 s15, s14, s41
	s_cmp_ge_u32 s14, s41
	v_add_nc_u32_e32 v146, v36, v35
	s_cselect_b32 s14, s15, s14
	v_add_nc_u32_e32 v142, s10, v141
	s_sub_i32 s15, s14, s41
	s_cmp_ge_u32 s14, s41
	v_or_b32_e32 v35, 56, v131
	s_cselect_b32 s14, s15, s14
	v_add_nc_u32_e32 v143, s10, v142
	s_xor_b32 s14, s14, s3
	v_or_b32_e32 v38, 0xb8, v131
	s_sub_i32 s3, s14, s3
	v_and_b32_e32 v153, 12, v35
	v_add_nc_u32_e32 v144, s10, v143
	v_and_b32_e32 v154, 28, v35
	v_or_b32_e32 v35, 0x78, v131
	s_ashr_i32 s14, s3, 31
	s_waitcnt lgkmcnt(0)
	s_mul_hi_u32 s15, s4, s3
	v_add_nc_u32_e32 v145, s10, v144
	s_mul_i32 s14, s4, s14
	v_and_b32_e32 v158, 12, v35
	v_and_b32_e32 v160, 28, v35
	;; [unrolled: 1-line block ×3, first 2 shown]
	v_add_nc_u32_e32 v149, s10, v145
	s_add_i32 s14, s15, s14
	s_mul_i32 s5, s5, s3
	s_mul_i32 s3, s4, s3
	s_add_i32 s14, s14, s5
	v_add_nc_u32_e32 v152, s10, v149
	s_mul_i32 s4, s43, s35
	s_add_u32 s3, s18, s3
	s_addc_u32 s5, s19, s14
	s_ashr_i32 s14, s4, 31
	v_add_nc_u32_e32 v156, s10, v152
	v_and_b32_e32 v163, 12, v38
	v_and_b32_e32 v165, 28, v38
	v_xor_b32_e32 v38, 1, v43
	v_add_nc_u32_e32 v35, 2, v35
	v_add_nc_u32_e32 v159, s10, v156
	s_add_u32 s15, s3, s4
	s_mov_b32 s3, s22
	s_addc_u32 s14, s5, s14
	s_lshl_b64 s[4:5], s[2:3], 1
	v_add_nc_u32_e32 v164, s10, v159
	s_add_u32 s4, s15, s4
	s_mul_i32 s3, s10, s2
	v_cmp_lt_i32_e32 vcc_lo, v38, v35
	s_addc_u32 s5, s14, s5
	v_add_nc_u32_e32 v166, s10, v164
	s_add_u32 s3, s9, s3
	s_mul_i32 s9, s28, s2
	s_addc_u32 s11, s11, 0
	s_add_u32 s14, s8, s9
	v_add_nc_u32_e32 v169, s10, v166
	s_addc_u32 s15, s29, 0
	v_cndmask_b32_e32 v35, v43, v38, vcc_lo
	s_cmp_lg_u64 s[18:19], 0
	v_or_b32_e32 v37, 0x58, v131
	v_add_nc_u32_e32 v172, s10, v169
	s_cselect_b32 s18, -1, 0
	s_lshl_b32 s8, s1, 7
	s_cmp_lt_i32 s35, s36
	v_lshlrev_b32_e32 v174, 2, v35
	v_add_nc_u32_e32 v175, s10, v172
	v_xor_b32_e32 v35, 2, v43
	s_cselect_b32 s1, -1, 0
	v_and_b32_e32 v155, 12, v37
	v_and_b32_e32 v157, 28, v37
	v_add_nc_u32_e32 v176, s10, v175
	v_or_b32_e32 v37, 0x98, v131
	s_and_b32 s17, s18, s1
	s_or_b32 s1, s35, 1
	v_or_b32_e32 v39, 0xf8, v131
	v_add_nc_u32_e32 v177, s10, v176
	s_cmp_lt_i32 s1, s36
	v_cmp_eq_u32_e64 s1, 0, v34
	v_xor_b32_e32 v34, 4, v43
	v_cmp_gt_i32_e32 vcc_lo, 32, v35
	v_add_nc_u32_e32 v179, s10, v177
	v_and_b32_e32 v161, 12, v37
	v_and_b32_e32 v162, 28, v37
	v_or_b32_e32 v37, 0xd8, v131
	v_and_b32_e32 v170, 12, v39
	v_add_nc_u32_e32 v180, s10, v179
	v_and_b32_e32 v171, 28, v39
	v_cndmask_b32_e32 v35, v43, v35, vcc_lo
	v_xor_b32_e32 v39, 8, v43
	v_cmp_gt_i32_e32 vcc_lo, 32, v34
	v_add_nc_u32_e32 v181, s10, v180
	v_and_b32_e32 v167, 12, v37
	v_and_b32_e32 v168, 28, v37
	v_add_nc_u32_e32 v37, s40, v146
	v_mul_lo_u32 v173, v146, s28
	v_xor_b32_e32 v40, 16, v43
	v_cndmask_b32_e32 v34, v43, v34, vcc_lo
	v_cmp_gt_i32_e32 vcc_lo, 32, v39
	v_add_nc_u32_e32 v183, s10, v181
	v_ashrrev_i32_e32 v38, 31, v37
	v_bfe_u32 v0, v41, 3, 27
	s_mul_i32 s16, s8, s28
	v_cndmask_b32_e32 v39, v43, v39, vcc_lo
	v_cmp_gt_i32_e32 vcc_lo, 32, v40
	v_add_nc_u32_e32 v187, s10, v183
	v_add_nc_u32_e32 v178, s28, v173
	s_cselect_b32 s19, -1, 0
	v_lshlrev_b32_e32 v184, 2, v34
	buffer_store_dword v41, off, s[52:55], 0 offset:20 ; 4-byte Folded Spill
	buffer_store_dword v0, off, s[52:55], 0 ; 4-byte Folded Spill
	buffer_store_dword v42, off, s[52:55], 0 offset:32 ; 4-byte Folded Spill
	s_ashr_i32 s9, s40, 31
	v_add_co_u32 v34, s28, s40, v146
	v_lshlrev_b64 v[0:1], 1, v[37:38]
	v_lshlrev_b32_e32 v182, 2, v35
	v_add_co_ci_u32_e64 v35, null, s9, 0, s28
	v_or_b32_e32 v112, 24, v131
	v_cndmask_b32_e32 v40, v43, v40, vcc_lo
	v_lshlrev_b32_e32 v185, 2, v39
	v_add_nc_u32_e32 v39, 0x80, v42
	v_add_nc_u32_e32 v192, s10, v187
	buffer_store_dword v0, off, s[52:55], 0 offset:4 ; 4-byte Folded Spill
	buffer_store_dword v1, off, s[52:55], 0 offset:8 ; 4-byte Folded Spill
	v_mov_b32_e32 v47, s23
	v_lshlrev_b64 v[0:1], 1, v[34:35]
	v_mov_b32_e32 v35, s13
	v_or_b32_e32 v148, 8, v131
	v_or_b32_e32 v150, 16, v131
	v_and_b32_e32 v113, 12, v112
	v_lshlrev_b32_e32 v186, 2, v40
	v_lshlrev_b32_e32 v188, 1, v36
	v_and_b32_e32 v190, 28, v42
	v_lshrrev_b32_e32 v191, 5, v39
	v_and_b32_e32 v193, 28, v39
	v_add_nc_u32_e32 v194, s10, v192
	v_mov_b32_e32 v46, s22
	v_mov_b32_e32 v195, 0x10001
	;; [unrolled: 1-line block ×3, first 2 shown]
	s_mul_i32 s10, s8, s10
	s_mov_b32 s9, s22
	s_and_b32 s12, s18, s19
	buffer_store_dword v0, off, s[52:55], 0 offset:12 ; 4-byte Folded Spill
	buffer_store_dword v1, off, s[52:55], 0 offset:16 ; 4-byte Folded Spill
	s_branch .LBB28_22
.LBB28_21:                              ;   in Loop: Header=BB28_22 Depth=1
	v_add_f32_e32 v0, 0x40051340, v200
	v_add_f32_e32 v1, 0x40051340, v42
	v_ashrrev_i32_e32 v44, 31, v133
	v_mul_u32_u24_e32 v199, 34, v191
	v_mul_hi_u32_u24_e32 v198, 34, v191
	s_add_i32 s2, s8, s2
	v_max3_f32 v36, v34, v0, v1
	v_add_f32_e32 v0, 0x40051340, v201
	v_add_f32_e32 v1, 0x40051340, v43
	s_add_u32 s14, s14, s16
	s_addc_u32 s15, s15, 0
	ds_bpermute_b32 v37, v182, v36
	v_max3_f32 v0, v35, v0, v1
	ds_bpermute_b32 v1, v182, v0
	s_waitcnt lgkmcnt(1)
	v_max_f32_e32 v37, v37, v37
	v_max_f32_e32 v36, v36, v37
	s_waitcnt lgkmcnt(0)
	v_max_f32_e32 v1, v1, v1
	ds_bpermute_b32 v37, v184, v36
	v_max_f32_e32 v0, v0, v1
	ds_bpermute_b32 v1, v184, v0
	s_waitcnt lgkmcnt(1)
	v_max_f32_e32 v37, v37, v37
	v_max_f32_e32 v36, v36, v37
	s_waitcnt lgkmcnt(0)
	v_max_f32_e32 v1, v1, v1
	ds_bpermute_b32 v37, v185, v36
	v_max_f32_e32 v0, v0, v1
	;; [unrolled: 8-line block ×3, first 2 shown]
	ds_bpermute_b32 v1, v186, v0
	s_waitcnt lgkmcnt(1)
	v_max_f32_e32 v37, v37, v37
	v_max_f32_e32 v116, v36, v37
	s_waitcnt lgkmcnt(0)
	v_max_f32_e32 v1, v1, v1
	v_sub_f32_e32 v38, v34, v116
	v_max_f32_e32 v117, v0, v1
	v_mul_f32_e32 v0, 0x3fb8aa3b, v38
	v_cmp_ngt_f32_e32 vcc_lo, 0xc2ce8ed0, v38
	v_sub_f32_e32 v1, v35, v117
	v_fma_f32 v34, 0x3fb8aa3b, v38, -v0
	v_rndne_f32_e32 v35, v0
	v_mul_f32_e32 v36, 0x3fb8aa3b, v1
	v_fmac_f32_e32 v34, 0x32a5705f, v38
	v_sub_f32_e32 v0, v0, v35
	v_fma_f32 v37, 0x3fb8aa3b, v1, -v36
	v_rndne_f32_e32 v39, v36
	v_cvt_i32_f32_e32 v40, v35
	v_add_f32_e32 v0, v0, v34
	v_fmac_f32_e32 v37, 0x32a5705f, v1
	v_sub_f32_e32 v34, v36, v39
	v_cvt_i32_f32_e32 v39, v39
	v_exp_f32_e32 v0, v0
	v_add_f32_e32 v34, v34, v37
	v_exp_f32_e32 v41, v34
	ds_read_b128 v[34:37], v129
	ds_read_b128 v[118:121], v129 offset:16
	v_ldexp_f32 v0, v0, v40
	buffer_load_dword v40, off, s[52:55], 0 ; 4-byte Folded Reload
	v_cndmask_b32_e32 v0, 0, v0, vcc_lo
	v_cmp_nlt_f32_e32 vcc_lo, 0x42b17218, v38
	v_ldexp_f32 v39, v41, v39
	v_cndmask_b32_e32 v122, 0x7f800000, v0, vcc_lo
	v_cmp_ngt_f32_e32 vcc_lo, 0xc2ce8ed0, v1
	v_cvt_f16_f32_e32 v38, v122
	v_cndmask_b32_e32 v0, 0, v39, vcc_lo
	v_add_co_u32 v41, vcc_lo, s3, v132
	s_waitcnt vmcnt(0)
	v_mul_u32_u24_e32 v197, 34, v40
	v_mul_hi_u32_u24_e32 v196, 34, v40
	v_ashrrev_i32_e32 v40, 31, v132
	v_add_co_ci_u32_e64 v45, null, s11, v40, vcc_lo
	v_cmp_nlt_f32_e32 vcc_lo, 0x42b17218, v1
	v_cndmask_b32_e32 v123, 0x7f800000, v0, vcc_lo
	v_mul_u32_u24_sdwa v0, v38, v195 dst_sel:DWORD dst_unused:UNUSED_PAD src0_sel:WORD_0 src1_sel:DWORD
	v_add_co_u32 v1, vcc_lo, s3, v133
	v_add_co_ci_u32_e64 v112, null, s11, v44, vcc_lo
	v_cvt_f16_f32_e32 v40, v123
	v_add_co_u32 v38, vcc_lo, v41, v197
	v_add_co_ci_u32_e64 v39, null, v45, v196, vcc_lo
	s_waitcnt lgkmcnt(1)
	v_pk_mul_f16 v34, v34, v0
	v_pk_mul_f16 v35, v35, v0
	;; [unrolled: 1-line block ×4, first 2 shown]
	v_mul_u32_u24_sdwa v0, v40, v195 dst_sel:DWORD dst_unused:UNUSED_PAD src0_sel:WORD_0 src1_sel:DWORD
	v_add_co_u32 v40, vcc_lo, v41, v199
	v_add_co_ci_u32_e64 v41, null, v45, v198, vcc_lo
	v_add_co_u32 v44, vcc_lo, v38, v190
	v_add_co_ci_u32_e64 v45, null, 0, v39, vcc_lo
	s_waitcnt lgkmcnt(0)
	v_pk_mul_f16 v204, v118, v0
	v_add_co_u32 v118, vcc_lo, v1, v197
	global_load_dword v44, v[44:45], off offset:2
	v_pk_mul_f16 v205, v119, v0
	v_pk_mul_f16 v202, v120, v0
	v_add_co_ci_u32_e64 v119, null, v112, v196, vcc_lo
	v_add_co_u32 v120, vcc_lo, v1, v199
	v_pk_mul_f16 v203, v121, v0
	v_add_co_ci_u32_e64 v121, null, v112, v198, vcc_lo
	v_add_co_u32 v206, vcc_lo, v40, v193
	v_add_co_ci_u32_e64 v207, null, 0, v41, vcc_lo
	global_load_ushort v0, v[40:41], off
	v_add_co_u32 v40, vcc_lo, v120, v193
	v_add_co_ci_u32_e64 v41, null, 0, v121, vcc_lo
	global_load_dword v1, v[40:41], off offset:2
	v_add_co_u32 v40, vcc_lo, v118, v190
	v_add_co_ci_u32_e64 v41, null, 0, v119, vcc_lo
	s_clause 0x2
	global_load_dword v112, v[40:41], off offset:2
	global_load_dword v113, v[206:207], off offset:2
	global_load_ushort v38, v[38:39], off
	v_cndmask_b32_e64 v39, v42, v200, s1
	v_cndmask_b32_e64 v41, v43, v201, s1
	v_sub_f32_e32 v39, v39, v116
	v_sub_f32_e32 v41, v41, v117
	v_mul_f32_e32 v40, 0x3fb8aa3b, v39
	v_cmp_ngt_f32_e32 vcc_lo, 0xc2ce8ed0, v39
	v_fma_f32 v42, 0x3fb8aa3b, v39, -v40
	v_rndne_f32_e32 v43, v40
	v_fmac_f32_e32 v42, 0x32a5705f, v39
	v_sub_f32_e32 v40, v40, v43
	v_cvt_i32_f32_e32 v43, v43
	v_add_f32_e32 v40, v40, v42
	v_mul_f32_e32 v42, 0x3fb8aa3b, v41
	v_exp_f32_e32 v40, v40
	v_fma_f32 v45, 0x3fb8aa3b, v41, -v42
	v_rndne_f32_e32 v124, v42
	v_fmac_f32_e32 v45, 0x32a5705f, v41
	v_sub_f32_e32 v42, v42, v124
	v_ldexp_f32 v40, v40, v43
	v_cvt_i32_f32_e32 v43, v124
	v_add_f32_e32 v42, v42, v45
	v_cndmask_b32_e32 v40, 0, v40, vcc_lo
	v_cmp_nlt_f32_e32 vcc_lo, 0x42b17218, v39
	v_exp_f32_e32 v42, v42
	v_cndmask_b32_e32 v200, 0x7f800000, v40, vcc_lo
	v_cmp_ngt_f32_e32 vcc_lo, 0xc2ce8ed0, v41
	v_cvt_f16_f32_e32 v40, v200
	v_ldexp_f32 v42, v42, v43
	v_fma_f32 v46, v122, v46, v200
	ds_write_b16 v128, v40
	v_cndmask_b32_e32 v39, 0, v42, vcc_lo
	v_cmp_nlt_f32_e32 vcc_lo, 0x42b17218, v41
	v_cndmask_b32_e32 v201, 0x7f800000, v39, vcc_lo
	v_fma_f32 v47, v123, v47, v201
	s_waitcnt vmcnt(5)
	v_pk_lshrrev_b16 v41, 8, v44 op_sel:[1,0] op_sel_hi:[0,0]
	v_pk_lshrrev_b16 v42, 8, v44 op_sel:[1,1] op_sel_hi:[0,1]
	v_lshrrev_b32_e32 v40, 16, v41
	v_cvt_f16_i16_sdwa v41, sext(v41) dst_sel:DWORD dst_unused:UNUSED_PAD src0_sel:BYTE_0
	v_cvt_f16_i16_sdwa v40, sext(v40) dst_sel:DWORD dst_unused:UNUSED_PAD src0_sel:BYTE_0
	s_waitcnt vmcnt(4)
	v_mul_u32_u24_e32 v0, 0x10001, v0
	v_pack_b32_f16 v40, v41, v40
	v_lshrrev_b32_e32 v41, 16, v42
	v_cvt_f16_i16_sdwa v42, sext(v42) dst_sel:DWORD dst_unused:UNUSED_PAD src0_sel:BYTE_0
	v_cvt_f16_i16_sdwa v41, sext(v41) dst_sel:DWORD dst_unused:UNUSED_PAD src0_sel:BYTE_0
	v_pack_b32_f16 v39, v42, v41
	v_cvt_f16_f32_e32 v41, v201
	ds_write_b16 v128, v41 offset:256
	ds_write_b128 v129, v[34:37]
	s_waitcnt vmcnt(0)
	v_mul_u32_u24_e32 v38, 0x10001, v38
	v_pk_mul_f16 v124, v40, v38
	v_pk_mul_f16 v125, v39, v38
	ds_read_b128 v[206:209], v188
	ds_read_b128 v[38:41], v188 offset:16
	s_waitcnt lgkmcnt(1)
	v_mul_u32_u24_sdwa v126, v206, v195 dst_sel:DWORD dst_unused:UNUSED_PAD src0_sel:WORD_0 src1_sel:DWORD
	v_pk_fma_f16 v130, v124, v126, v34
	v_pk_fma_f16 v147, v125, v126, v35
	ds_read_b128 v[42:45], v188 offset:256
	ds_read_b128 v[34:37], v188 offset:272
	s_waitcnt lgkmcnt(1)
	v_mul_u32_u24_sdwa v151, v42, v195 dst_sel:DWORD dst_unused:UNUSED_PAD src0_sel:WORD_0 src1_sel:DWORD
	v_mul_u32_u24_sdwa v42, v42, v195 dst_sel:DWORD dst_unused:UNUSED_PAD src0_sel:WORD_1 src1_sel:DWORD
	v_pk_fma_f16 v210, v124, v151, v204
	v_pk_lshrrev_b16 v124, 8, v113 op_sel:[1,0] op_sel_hi:[0,0]
	v_pk_fma_f16 v211, v125, v151, v205
	v_pk_lshrrev_b16 v113, 8, v113 op_sel:[1,1] op_sel_hi:[0,1]
	v_lshrrev_b32_e32 v125, 16, v124
	v_cvt_f16_i16_sdwa v124, sext(v124) dst_sel:DWORD dst_unused:UNUSED_PAD src0_sel:BYTE_0
	v_cvt_f16_i16_sdwa v125, sext(v125) dst_sel:DWORD dst_unused:UNUSED_PAD src0_sel:BYTE_0
	v_pack_b32_f16 v124, v124, v125
	v_lshrrev_b32_e32 v125, 16, v113
	v_cvt_f16_i16_sdwa v113, sext(v113) dst_sel:DWORD dst_unused:UNUSED_PAD src0_sel:BYTE_0
	v_pk_mul_f16 v124, v124, v0
	v_cvt_f16_i16_sdwa v125, sext(v125) dst_sel:DWORD dst_unused:UNUSED_PAD src0_sel:BYTE_0
	v_pk_fma_f16 v212, v124, v151, v202
	v_pack_b32_f16 v113, v113, v125
	v_pk_mul_f16 v0, v113, v0
	s_clause 0x1
	global_load_ushort v113, v[118:119], off
	global_load_ushort v118, v[120:121], off
	v_pk_lshrrev_b16 v119, 8, v112 op_sel:[1,0] op_sel_hi:[0,0]
	v_pk_lshrrev_b16 v112, 8, v112 op_sel:[1,1] op_sel_hi:[0,1]
	v_pk_fma_f16 v213, v0, v151, v203
	ds_read_b64 v[202:203], v129 offset:8
	v_lshrrev_b32_e32 v120, 16, v119
	v_cvt_f16_i16_sdwa v119, sext(v119) dst_sel:DWORD dst_unused:UNUSED_PAD src0_sel:BYTE_0
	ds_write_b128 v129, v[210:213] offset:16
	v_cvt_f16_i16_sdwa v120, sext(v120) dst_sel:DWORD dst_unused:UNUSED_PAD src0_sel:BYTE_0
	v_pack_b32_f16 v119, v119, v120
	v_lshrrev_b32_e32 v120, 16, v112
	v_cvt_f16_i16_sdwa v112, sext(v112) dst_sel:DWORD dst_unused:UNUSED_PAD src0_sel:BYTE_0
	v_cvt_f16_i16_sdwa v120, sext(v120) dst_sel:DWORD dst_unused:UNUSED_PAD src0_sel:BYTE_0
	s_waitcnt lgkmcnt(1)
	v_pk_fma_f16 v0, v0, v126, v203
	v_pack_b32_f16 v112, v112, v120
	v_pk_lshrrev_b16 v120, 8, v1 op_sel:[1,0] op_sel_hi:[0,0]
	v_pk_lshrrev_b16 v1, 8, v1 op_sel:[1,1] op_sel_hi:[0,1]
	v_lshrrev_b32_e32 v121, 16, v120
	v_cvt_f16_i16_sdwa v120, sext(v120) dst_sel:DWORD dst_unused:UNUSED_PAD src0_sel:BYTE_0
	v_cvt_f16_i16_sdwa v121, sext(v121) dst_sel:DWORD dst_unused:UNUSED_PAD src0_sel:BYTE_0
	v_pack_b32_f16 v120, v120, v121
	v_lshrrev_b32_e32 v121, 16, v1
	v_cvt_f16_i16_sdwa v1, sext(v1) dst_sel:DWORD dst_unused:UNUSED_PAD src0_sel:BYTE_0
	v_cvt_f16_i16_sdwa v121, sext(v121) dst_sel:DWORD dst_unused:UNUSED_PAD src0_sel:BYTE_0
	v_pack_b32_f16 v1, v1, v121
	s_waitcnt vmcnt(1)
	v_mul_u32_u24_e32 v113, 0x10001, v113
	v_pk_mul_f16 v125, v119, v113
	v_pk_mul_f16 v112, v112, v113
	s_waitcnt vmcnt(0)
	v_mul_u32_u24_e32 v113, 0x10001, v118
	v_pk_fma_f16 v118, v125, v42, v210
	v_pk_fma_f16 v119, v112, v42, v211
	v_pk_mul_f16 v151, v120, v113
	v_pk_mul_f16 v1, v1, v113
	v_mul_u32_u24_sdwa v113, v206, v195 dst_sel:DWORD dst_unused:UNUSED_PAD src0_sel:WORD_1 src1_sel:DWORD
	v_pk_fma_f16 v120, v151, v42, v212
	v_pk_fma_f16 v121, v1, v42, v213
	;; [unrolled: 1-line block ×3, first 2 shown]
	v_ashrrev_i32_e32 v0, 31, v134
	v_add_co_u32 v1, vcc_lo, s3, v134
	v_pk_fma_f16 v42, v124, v126, v202
	v_pk_fma_f16 v203, v112, v113, v147
	v_add_co_ci_u32_e64 v0, null, s11, v0, vcc_lo
	v_add_co_u32 v210, vcc_lo, v1, v197
	v_pk_fma_f16 v204, v151, v113, v42
	v_add_co_ci_u32_e64 v211, null, v0, v196, vcc_lo
	v_add_co_u32 v212, vcc_lo, v210, v190
	v_pk_fma_f16 v202, v125, v113, v130
	v_add_co_ci_u32_e64 v213, null, 0, v211, vcc_lo
	global_load_dword v42, v[212:213], off offset:2
	v_add_co_u32 v212, vcc_lo, v1, v199
	v_add_co_ci_u32_e64 v213, null, v0, v198, vcc_lo
	v_ashrrev_i32_e32 v1, 31, v135
	v_add_co_u32 v214, vcc_lo, v212, v193
	v_add_co_ci_u32_e64 v215, null, 0, v213, vcc_lo
	v_add_co_u32 v112, vcc_lo, s3, v135
	v_add_co_ci_u32_e64 v1, null, s11, v1, vcc_lo
	global_load_dword v0, v[214:215], off offset:2
	v_add_co_u32 v214, vcc_lo, v112, v197
	v_add_co_ci_u32_e64 v215, null, v1, v196, vcc_lo
	v_add_co_u32 v216, vcc_lo, v112, v199
	v_add_co_ci_u32_e64 v217, null, v1, v198, vcc_lo
	;; [unrolled: 2-line block ×3, first 2 shown]
	global_load_ushort v1, v[214:215], off
	v_add_co_u32 v214, vcc_lo, v216, v193
	v_add_co_ci_u32_e64 v215, null, 0, v217, vcc_lo
	s_clause 0x3
	global_load_dword v112, v[214:215], off offset:2
	global_load_dword v113, v[218:219], off offset:2
	global_load_ushort v124, v[212:213], off
	global_load_ushort v125, v[210:211], off
	ds_write_b128 v129, v[202:205]
	ds_write_b128 v129, v[118:121] offset:16
	s_waitcnt vmcnt(6)
	v_pk_lshrrev_b16 v126, 8, v42 op_sel:[1,0] op_sel_hi:[0,0]
	v_pk_lshrrev_b16 v42, 8, v42 op_sel:[1,1] op_sel_hi:[0,1]
	v_lshrrev_b32_e32 v130, 16, v126
	v_cvt_f16_i16_sdwa v126, sext(v126) dst_sel:DWORD dst_unused:UNUSED_PAD src0_sel:BYTE_0
	v_cvt_f16_i16_sdwa v130, sext(v130) dst_sel:DWORD dst_unused:UNUSED_PAD src0_sel:BYTE_0
	v_pack_b32_f16 v126, v126, v130
	v_lshrrev_b32_e32 v130, 16, v42
	v_cvt_f16_i16_sdwa v42, sext(v42) dst_sel:DWORD dst_unused:UNUSED_PAD src0_sel:BYTE_0
	v_cvt_f16_i16_sdwa v130, sext(v130) dst_sel:DWORD dst_unused:UNUSED_PAD src0_sel:BYTE_0
	v_pack_b32_f16 v42, v42, v130
	s_waitcnt vmcnt(5)
	v_pk_lshrrev_b16 v130, 8, v0 op_sel:[1,0] op_sel_hi:[0,0]
	v_pk_lshrrev_b16 v0, 8, v0 op_sel:[1,1] op_sel_hi:[0,1]
	s_waitcnt vmcnt(4)
	v_mul_u32_u24_e32 v1, 0x10001, v1
	v_lshrrev_b32_e32 v147, 16, v130
	v_cvt_f16_i16_sdwa v130, sext(v130) dst_sel:DWORD dst_unused:UNUSED_PAD src0_sel:BYTE_0
	s_waitcnt vmcnt(1)
	v_mul_u32_u24_e32 v124, 0x10001, v124
	s_waitcnt vmcnt(0)
	v_mul_u32_u24_e32 v125, 0x10001, v125
	v_cvt_f16_i16_sdwa v147, sext(v147) dst_sel:DWORD dst_unused:UNUSED_PAD src0_sel:BYTE_0
	v_pk_mul_f16 v126, v126, v125
	v_pk_mul_f16 v42, v42, v125
	v_pack_b32_f16 v130, v130, v147
	v_lshrrev_b32_e32 v147, 16, v0
	v_cvt_f16_i16_sdwa v0, sext(v0) dst_sel:DWORD dst_unused:UNUSED_PAD src0_sel:BYTE_0
	v_pk_mul_f16 v125, v130, v124
	v_cvt_f16_i16_sdwa v147, sext(v147) dst_sel:DWORD dst_unused:UNUSED_PAD src0_sel:BYTE_0
	v_mul_u32_u24_sdwa v130, v34, v195 dst_sel:DWORD dst_unused:UNUSED_PAD src0_sel:WORD_0 src1_sel:DWORD
	v_mul_u32_u24_sdwa v34, v34, v195 dst_sel:DWORD dst_unused:UNUSED_PAD src0_sel:WORD_1 src1_sel:DWORD
	v_pack_b32_f16 v0, v0, v147
	v_pk_mul_f16 v0, v0, v124
	v_mul_u32_u24_sdwa v124, v207, v195 dst_sel:DWORD dst_unused:UNUSED_PAD src0_sel:WORD_0 src1_sel:DWORD
	v_pk_fma_f16 v210, v126, v124, v202
	v_pk_fma_f16 v211, v42, v124, v203
	;; [unrolled: 1-line block ×4, first 2 shown]
	v_mul_u32_u24_sdwa v124, v43, v195 dst_sel:DWORD dst_unused:UNUSED_PAD src0_sel:WORD_0 src1_sel:DWORD
	v_mul_u32_u24_sdwa v43, v43, v195 dst_sel:DWORD dst_unused:UNUSED_PAD src0_sel:WORD_1 src1_sel:DWORD
	ds_write_b128 v129, v[210:213]
	v_pk_fma_f16 v205, v0, v124, v121
	global_load_ushort v0, v[216:217], off
	v_pk_fma_f16 v203, v42, v124, v119
	v_pk_lshrrev_b16 v42, 8, v113 op_sel:[1,0] op_sel_hi:[0,0]
	v_pk_fma_f16 v202, v126, v124, v118
	v_pk_lshrrev_b16 v113, 8, v113 op_sel:[1,1] op_sel_hi:[0,1]
	v_pk_fma_f16 v204, v125, v124, v120
	v_lshrrev_b32_e32 v118, 16, v42
	v_cvt_f16_i16_sdwa v42, sext(v42) dst_sel:DWORD dst_unused:UNUSED_PAD src0_sel:BYTE_0
	ds_write_b128 v129, v[202:205] offset:16
	v_cvt_f16_i16_sdwa v118, sext(v118) dst_sel:DWORD dst_unused:UNUSED_PAD src0_sel:BYTE_0
	v_pack_b32_f16 v42, v42, v118
	v_lshrrev_b32_e32 v118, 16, v113
	v_cvt_f16_i16_sdwa v113, sext(v113) dst_sel:DWORD dst_unused:UNUSED_PAD src0_sel:BYTE_0
	v_pk_mul_f16 v42, v42, v1
	v_cvt_f16_i16_sdwa v118, sext(v118) dst_sel:DWORD dst_unused:UNUSED_PAD src0_sel:BYTE_0
	v_pack_b32_f16 v113, v113, v118
	v_pk_lshrrev_b16 v118, 8, v112 op_sel:[1,0] op_sel_hi:[0,0]
	v_pk_lshrrev_b16 v112, 8, v112 op_sel:[1,1] op_sel_hi:[0,1]
	v_pk_mul_f16 v1, v113, v1
	v_lshrrev_b32_e32 v119, 16, v118
	v_cvt_f16_i16_sdwa v118, sext(v118) dst_sel:DWORD dst_unused:UNUSED_PAD src0_sel:BYTE_0
	v_cvt_f16_i16_sdwa v119, sext(v119) dst_sel:DWORD dst_unused:UNUSED_PAD src0_sel:BYTE_0
	v_pack_b32_f16 v118, v118, v119
	v_lshrrev_b32_e32 v119, 16, v112
	v_cvt_f16_i16_sdwa v112, sext(v112) dst_sel:DWORD dst_unused:UNUSED_PAD src0_sel:BYTE_0
	v_cvt_f16_i16_sdwa v119, sext(v119) dst_sel:DWORD dst_unused:UNUSED_PAD src0_sel:BYTE_0
	v_pack_b32_f16 v112, v112, v119
	s_waitcnt vmcnt(0)
	v_mul_u32_u24_e32 v0, 0x10001, v0
	v_pk_mul_f16 v113, v118, v0
	v_pk_mul_f16 v0, v112, v0
	v_mul_u32_u24_sdwa v112, v207, v195 dst_sel:DWORD dst_unused:UNUSED_PAD src0_sel:WORD_1 src1_sel:DWORD
	v_pk_fma_f16 v121, v0, v112, v213
	v_pk_fma_f16 v213, v0, v43, v205
	v_ashrrev_i32_e32 v0, 31, v136
	v_pk_fma_f16 v119, v1, v112, v211
	v_pk_fma_f16 v211, v1, v43, v203
	v_add_co_u32 v1, vcc_lo, s3, v136
	v_add_co_ci_u32_e64 v0, null, s11, v0, vcc_lo
	v_pk_fma_f16 v118, v42, v112, v210
	v_pk_fma_f16 v210, v42, v43, v202
	v_add_co_u32 v42, vcc_lo, v1, v197
	v_pk_fma_f16 v120, v113, v112, v212
	v_pk_fma_f16 v212, v113, v43, v204
	v_add_co_ci_u32_e64 v43, null, v0, v196, vcc_lo
	v_add_co_u32 v202, vcc_lo, v42, v190
	v_add_co_ci_u32_e64 v203, null, 0, v43, vcc_lo
	global_load_dword v112, v[202:203], off offset:2
	v_add_co_u32 v202, vcc_lo, v1, v199
	v_add_co_ci_u32_e64 v203, null, v0, v198, vcc_lo
	v_ashrrev_i32_e32 v0, 31, v137
	v_add_co_u32 v1, vcc_lo, s3, v137
	v_add_co_ci_u32_e64 v0, null, s11, v0, vcc_lo
	v_add_co_u32 v206, vcc_lo, v1, v197
	v_add_co_ci_u32_e64 v207, null, v0, v196, vcc_lo
	;; [unrolled: 2-line block ×4, first 2 shown]
	global_load_ushort v0, v[202:203], off
	v_add_co_u32 v202, vcc_lo, v214, v193
	v_add_co_ci_u32_e64 v203, null, 0, v215, vcc_lo
	global_load_dword v1, v[202:203], off offset:2
	v_add_co_u32 v202, vcc_lo, v206, v190
	v_add_co_ci_u32_e64 v203, null, 0, v207, vcc_lo
	s_clause 0x2
	global_load_dword v113, v[202:203], off offset:2
	global_load_dword v124, v[204:205], off offset:2
	global_load_ushort v42, v[42:43], off
	ds_write_b128 v129, v[118:121]
	ds_write_b128 v129, v[210:213] offset:16
	s_waitcnt vmcnt(5)
	v_pk_lshrrev_b16 v43, 8, v112 op_sel:[1,0] op_sel_hi:[0,0]
	v_pk_lshrrev_b16 v112, 8, v112 op_sel:[1,1] op_sel_hi:[0,1]
	v_lshrrev_b32_e32 v125, 16, v43
	v_cvt_f16_i16_sdwa v43, sext(v43) dst_sel:DWORD dst_unused:UNUSED_PAD src0_sel:BYTE_0
	v_cvt_f16_i16_sdwa v125, sext(v125) dst_sel:DWORD dst_unused:UNUSED_PAD src0_sel:BYTE_0
	v_pack_b32_f16 v43, v43, v125
	v_lshrrev_b32_e32 v125, 16, v112
	v_cvt_f16_i16_sdwa v112, sext(v112) dst_sel:DWORD dst_unused:UNUSED_PAD src0_sel:BYTE_0
	v_cvt_f16_i16_sdwa v125, sext(v125) dst_sel:DWORD dst_unused:UNUSED_PAD src0_sel:BYTE_0
	s_waitcnt vmcnt(4)
	v_mul_u32_u24_e32 v0, 0x10001, v0
	v_pack_b32_f16 v112, v112, v125
	s_waitcnt vmcnt(0)
	v_mul_u32_u24_e32 v42, 0x10001, v42
	v_pk_mul_f16 v43, v43, v42
	v_pk_mul_f16 v42, v112, v42
	v_pk_lshrrev_b16 v112, 8, v124 op_sel:[1,0] op_sel_hi:[0,0]
	v_pk_lshrrev_b16 v124, 8, v124 op_sel:[1,1] op_sel_hi:[0,1]
	v_lshrrev_b32_e32 v125, 16, v112
	v_cvt_f16_i16_sdwa v112, sext(v112) dst_sel:DWORD dst_unused:UNUSED_PAD src0_sel:BYTE_0
	v_cvt_f16_i16_sdwa v125, sext(v125) dst_sel:DWORD dst_unused:UNUSED_PAD src0_sel:BYTE_0
	v_pack_b32_f16 v112, v112, v125
	v_lshrrev_b32_e32 v125, 16, v124
	v_cvt_f16_i16_sdwa v124, sext(v124) dst_sel:DWORD dst_unused:UNUSED_PAD src0_sel:BYTE_0
	v_pk_mul_f16 v112, v112, v0
	v_cvt_f16_i16_sdwa v125, sext(v125) dst_sel:DWORD dst_unused:UNUSED_PAD src0_sel:BYTE_0
	v_pack_b32_f16 v124, v124, v125
	v_pk_mul_f16 v0, v124, v0
	v_mul_u32_u24_sdwa v124, v208, v195 dst_sel:DWORD dst_unused:UNUSED_PAD src0_sel:WORD_0 src1_sel:DWORD
	v_pk_fma_f16 v205, v0, v124, v121
	v_mul_u32_u24_sdwa v121, v44, v195 dst_sel:DWORD dst_unused:UNUSED_PAD src0_sel:WORD_0 src1_sel:DWORD
	v_pk_fma_f16 v202, v43, v124, v118
	v_pk_fma_f16 v203, v42, v124, v119
	;; [unrolled: 1-line block ×7, first 2 shown]
	s_clause 0x1
	global_load_ushort v0, v[206:207], off
	global_load_ushort v42, v[214:215], off
	v_pk_lshrrev_b16 v43, 8, v113 op_sel:[1,0] op_sel_hi:[0,0]
	ds_write_b128 v129, v[202:205]
	ds_write_b128 v129, v[118:121] offset:16
	v_lshrrev_b32_e32 v112, 16, v43
	v_cvt_f16_i16_sdwa v43, sext(v43) dst_sel:DWORD dst_unused:UNUSED_PAD src0_sel:BYTE_0
	v_cvt_f16_i16_sdwa v112, sext(v112) dst_sel:DWORD dst_unused:UNUSED_PAD src0_sel:BYTE_0
	v_pack_b32_f16 v43, v43, v112
	v_pk_lshrrev_b16 v112, 8, v113 op_sel:[1,1] op_sel_hi:[0,1]
	v_lshrrev_b32_e32 v113, 16, v112
	v_cvt_f16_i16_sdwa v112, sext(v112) dst_sel:DWORD dst_unused:UNUSED_PAD src0_sel:BYTE_0
	v_cvt_f16_i16_sdwa v113, sext(v113) dst_sel:DWORD dst_unused:UNUSED_PAD src0_sel:BYTE_0
	v_pack_b32_f16 v112, v112, v113
	s_waitcnt vmcnt(1)
	v_mul_u32_u24_e32 v0, 0x10001, v0
	s_waitcnt vmcnt(0)
	v_mul_u32_u24_e32 v42, 0x10001, v42
	v_pk_mul_f16 v43, v43, v0
	v_pk_mul_f16 v0, v112, v0
	v_pk_lshrrev_b16 v112, 8, v1 op_sel:[1,0] op_sel_hi:[0,0]
	v_pk_lshrrev_b16 v1, 8, v1 op_sel:[1,1] op_sel_hi:[0,1]
	v_lshrrev_b32_e32 v113, 16, v112
	v_cvt_f16_i16_sdwa v112, sext(v112) dst_sel:DWORD dst_unused:UNUSED_PAD src0_sel:BYTE_0
	v_cvt_f16_i16_sdwa v113, sext(v113) dst_sel:DWORD dst_unused:UNUSED_PAD src0_sel:BYTE_0
	v_pack_b32_f16 v112, v112, v113
	v_lshrrev_b32_e32 v113, 16, v1
	v_cvt_f16_i16_sdwa v1, sext(v1) dst_sel:DWORD dst_unused:UNUSED_PAD src0_sel:BYTE_0
	v_pk_mul_f16 v112, v112, v42
	v_cvt_f16_i16_sdwa v113, sext(v113) dst_sel:DWORD dst_unused:UNUSED_PAD src0_sel:BYTE_0
	v_pack_b32_f16 v1, v1, v113
	v_pk_mul_f16 v1, v1, v42
	v_mul_u32_u24_sdwa v42, v208, v195 dst_sel:DWORD dst_unused:UNUSED_PAD src0_sel:WORD_1 src1_sel:DWORD
	v_pk_fma_f16 v210, v43, v42, v202
	v_pk_fma_f16 v211, v0, v42, v203
	v_pk_fma_f16 v212, v112, v42, v204
	v_pk_fma_f16 v213, v1, v42, v205
	v_mul_u32_u24_sdwa v42, v44, v195 dst_sel:DWORD dst_unused:UNUSED_PAD src0_sel:WORD_1 src1_sel:DWORD
	v_pk_fma_f16 v203, v0, v42, v119
	v_ashrrev_i32_e32 v0, 31, v138
	v_pk_fma_f16 v205, v1, v42, v121
	v_add_co_u32 v1, vcc_lo, s3, v138
	v_pk_fma_f16 v202, v43, v42, v118
	v_add_co_ci_u32_e64 v0, null, s11, v0, vcc_lo
	v_pk_fma_f16 v204, v112, v42, v120
	v_add_co_u32 v42, vcc_lo, v1, v197
	v_add_co_ci_u32_e64 v43, null, v0, v196, vcc_lo
	v_add_co_u32 v118, vcc_lo, v42, v190
	v_add_co_ci_u32_e64 v119, null, 0, v43, vcc_lo
	global_load_dword v44, v[118:119], off offset:2
	v_add_co_u32 v118, vcc_lo, v1, v199
	v_add_co_ci_u32_e64 v119, null, v0, v198, vcc_lo
	v_ashrrev_i32_e32 v1, 31, v139
	v_add_co_u32 v120, vcc_lo, v118, v193
	v_add_co_ci_u32_e64 v121, null, 0, v119, vcc_lo
	v_add_co_u32 v112, vcc_lo, s3, v139
	v_add_co_ci_u32_e64 v1, null, s11, v1, vcc_lo
	global_load_dword v0, v[120:121], off offset:2
	v_add_co_u32 v120, vcc_lo, v112, v197
	v_add_co_ci_u32_e64 v121, null, v1, v196, vcc_lo
	v_add_co_u32 v206, vcc_lo, v112, v199
	v_add_co_ci_u32_e64 v207, null, v1, v198, vcc_lo
	;; [unrolled: 2-line block ×3, first 2 shown]
	global_load_ushort v1, v[120:121], off
	v_add_co_u32 v120, vcc_lo, v206, v193
	v_add_co_ci_u32_e64 v121, null, 0, v207, vcc_lo
	s_clause 0x3
	global_load_dword v112, v[120:121], off offset:2
	global_load_dword v113, v[214:215], off offset:2
	global_load_ushort v118, v[118:119], off
	global_load_ushort v42, v[42:43], off
	ds_write_b128 v129, v[210:213]
	ds_write_b128 v129, v[202:205] offset:16
	s_waitcnt vmcnt(6)
	v_pk_lshrrev_b16 v43, 8, v44 op_sel:[1,0] op_sel_hi:[0,0]
	v_pk_lshrrev_b16 v44, 8, v44 op_sel:[1,1] op_sel_hi:[0,1]
	v_lshrrev_b32_e32 v119, 16, v43
	v_cvt_f16_i16_sdwa v43, sext(v43) dst_sel:DWORD dst_unused:UNUSED_PAD src0_sel:BYTE_0
	v_cvt_f16_i16_sdwa v119, sext(v119) dst_sel:DWORD dst_unused:UNUSED_PAD src0_sel:BYTE_0
	v_pack_b32_f16 v43, v43, v119
	v_lshrrev_b32_e32 v119, 16, v44
	v_cvt_f16_i16_sdwa v44, sext(v44) dst_sel:DWORD dst_unused:UNUSED_PAD src0_sel:BYTE_0
	v_cvt_f16_i16_sdwa v119, sext(v119) dst_sel:DWORD dst_unused:UNUSED_PAD src0_sel:BYTE_0
	v_pack_b32_f16 v44, v44, v119
	s_waitcnt vmcnt(5)
	v_pk_lshrrev_b16 v119, 8, v0 op_sel:[1,0] op_sel_hi:[0,0]
	v_pk_lshrrev_b16 v0, 8, v0 op_sel:[1,1] op_sel_hi:[0,1]
	s_waitcnt vmcnt(4)
	v_mul_u32_u24_e32 v1, 0x10001, v1
	v_lshrrev_b32_e32 v120, 16, v119
	v_cvt_f16_i16_sdwa v119, sext(v119) dst_sel:DWORD dst_unused:UNUSED_PAD src0_sel:BYTE_0
	s_waitcnt vmcnt(0)
	v_mul_u32_u24_e32 v42, 0x10001, v42
	v_cvt_f16_i16_sdwa v120, sext(v120) dst_sel:DWORD dst_unused:UNUSED_PAD src0_sel:BYTE_0
	v_pk_mul_f16 v43, v43, v42
	v_pk_mul_f16 v42, v44, v42
	v_pack_b32_f16 v119, v119, v120
	v_lshrrev_b32_e32 v120, 16, v0
	v_cvt_f16_i16_sdwa v0, sext(v0) dst_sel:DWORD dst_unused:UNUSED_PAD src0_sel:BYTE_0
	v_mul_u32_u24_e32 v44, 0x10001, v118
	v_cvt_f16_i16_sdwa v120, sext(v120) dst_sel:DWORD dst_unused:UNUSED_PAD src0_sel:BYTE_0
	v_pk_mul_f16 v124, v119, v44
	v_pack_b32_f16 v0, v0, v120
	v_pk_mul_f16 v0, v0, v44
	v_mul_u32_u24_sdwa v44, v209, v195 dst_sel:DWORD dst_unused:UNUSED_PAD src0_sel:WORD_0 src1_sel:DWORD
	v_pk_fma_f16 v118, v43, v44, v210
	v_pk_fma_f16 v119, v42, v44, v211
	;; [unrolled: 1-line block ×4, first 2 shown]
	v_mul_u32_u24_sdwa v44, v45, v195 dst_sel:DWORD dst_unused:UNUSED_PAD src0_sel:WORD_0 src1_sel:DWORD
	ds_write_b128 v129, v[118:121]
	v_pk_fma_f16 v211, v42, v44, v203
	global_load_ushort v42, v[206:207], off
	v_pk_fma_f16 v210, v43, v44, v202
	v_pk_lshrrev_b16 v43, 8, v113 op_sel:[1,0] op_sel_hi:[0,0]
	v_pk_fma_f16 v212, v124, v44, v204
	v_pk_fma_f16 v213, v0, v44, v205
	v_mul_u32_u24_sdwa v0, v209, v195 dst_sel:DWORD dst_unused:UNUSED_PAD src0_sel:WORD_1 src1_sel:DWORD
	v_lshrrev_b32_e32 v44, 16, v43
	v_cvt_f16_i16_sdwa v43, sext(v43) dst_sel:DWORD dst_unused:UNUSED_PAD src0_sel:BYTE_0
	ds_write_b128 v129, v[210:213] offset:16
	v_cvt_f16_i16_sdwa v44, sext(v44) dst_sel:DWORD dst_unused:UNUSED_PAD src0_sel:BYTE_0
	v_pack_b32_f16 v43, v43, v44
	v_pk_lshrrev_b16 v44, 8, v113 op_sel:[1,1] op_sel_hi:[0,1]
	v_pk_mul_f16 v43, v43, v1
	v_lshrrev_b32_e32 v113, 16, v44
	v_cvt_f16_i16_sdwa v44, sext(v44) dst_sel:DWORD dst_unused:UNUSED_PAD src0_sel:BYTE_0
	v_pk_fma_f16 v202, v43, v0, v118
	v_cvt_f16_i16_sdwa v113, sext(v113) dst_sel:DWORD dst_unused:UNUSED_PAD src0_sel:BYTE_0
	v_pack_b32_f16 v44, v44, v113
	v_pk_mul_f16 v1, v44, v1
	v_pk_lshrrev_b16 v44, 8, v112 op_sel:[1,0] op_sel_hi:[0,0]
	v_pk_lshrrev_b16 v112, 8, v112 op_sel:[1,1] op_sel_hi:[0,1]
	v_pk_fma_f16 v203, v1, v0, v119
	v_lshrrev_b32_e32 v113, 16, v44
	v_cvt_f16_i16_sdwa v44, sext(v44) dst_sel:DWORD dst_unused:UNUSED_PAD src0_sel:BYTE_0
	v_cvt_f16_i16_sdwa v113, sext(v113) dst_sel:DWORD dst_unused:UNUSED_PAD src0_sel:BYTE_0
	v_pack_b32_f16 v44, v44, v113
	v_lshrrev_b32_e32 v113, 16, v112
	v_cvt_f16_i16_sdwa v112, sext(v112) dst_sel:DWORD dst_unused:UNUSED_PAD src0_sel:BYTE_0
	v_cvt_f16_i16_sdwa v113, sext(v113) dst_sel:DWORD dst_unused:UNUSED_PAD src0_sel:BYTE_0
	v_pack_b32_f16 v112, v112, v113
	s_waitcnt vmcnt(0)
	v_mul_u32_u24_e32 v42, 0x10001, v42
	v_pk_mul_f16 v44, v44, v42
	v_pk_mul_f16 v112, v112, v42
	v_pk_fma_f16 v204, v44, v0, v120
	v_pk_fma_f16 v205, v112, v0, v121
	v_mul_u32_u24_sdwa v0, v45, v195 dst_sel:DWORD dst_unused:UNUSED_PAD src0_sel:WORD_1 src1_sel:DWORD
	v_pk_fma_f16 v42, v43, v0, v210
	v_pk_fma_f16 v43, v1, v0, v211
	;; [unrolled: 1-line block ×4, first 2 shown]
	v_ashrrev_i32_e32 v0, 31, v140
	v_add_co_u32 v1, vcc_lo, s3, v140
	v_add_co_ci_u32_e64 v0, null, s11, v0, vcc_lo
	v_add_co_u32 v118, vcc_lo, v1, v197
	v_add_co_ci_u32_e64 v119, null, v0, v196, vcc_lo
	;; [unrolled: 2-line block ×3, first 2 shown]
	global_load_dword v112, v[120:121], off offset:2
	v_add_co_u32 v120, vcc_lo, v1, v199
	v_add_co_ci_u32_e64 v121, null, v0, v198, vcc_lo
	v_ashrrev_i32_e32 v1, 31, v141
	v_add_co_u32 v206, vcc_lo, v120, v193
	v_add_co_ci_u32_e64 v207, null, 0, v121, vcc_lo
	v_add_co_u32 v113, vcc_lo, s3, v141
	v_add_co_ci_u32_e64 v1, null, s11, v1, vcc_lo
	global_load_dword v0, v[206:207], off offset:2
	v_add_co_u32 v206, vcc_lo, v113, v197
	v_add_co_ci_u32_e64 v207, null, v1, v196, vcc_lo
	v_add_co_u32 v208, vcc_lo, v113, v199
	v_add_co_ci_u32_e64 v209, null, v1, v198, vcc_lo
	v_add_co_u32 v210, vcc_lo, v206, v190
	v_add_co_ci_u32_e64 v211, null, 0, v207, vcc_lo
	global_load_ushort v1, v[206:207], off
	v_add_co_u32 v206, vcc_lo, v208, v193
	v_add_co_ci_u32_e64 v207, null, 0, v209, vcc_lo
	s_clause 0x3
	global_load_dword v113, v[206:207], off offset:2
	global_load_dword v124, v[210:211], off offset:2
	global_load_ushort v120, v[120:121], off
	global_load_ushort v118, v[118:119], off
	ds_write_b128 v129, v[202:205]
	ds_write_b128 v129, v[42:45] offset:16
	s_waitcnt vmcnt(6)
	v_pk_lshrrev_b16 v119, 8, v112 op_sel:[1,0] op_sel_hi:[0,0]
	v_pk_lshrrev_b16 v112, 8, v112 op_sel:[1,1] op_sel_hi:[0,1]
	v_lshrrev_b32_e32 v121, 16, v119
	v_cvt_f16_i16_sdwa v119, sext(v119) dst_sel:DWORD dst_unused:UNUSED_PAD src0_sel:BYTE_0
	v_cvt_f16_i16_sdwa v121, sext(v121) dst_sel:DWORD dst_unused:UNUSED_PAD src0_sel:BYTE_0
	v_pack_b32_f16 v119, v119, v121
	v_lshrrev_b32_e32 v121, 16, v112
	v_cvt_f16_i16_sdwa v112, sext(v112) dst_sel:DWORD dst_unused:UNUSED_PAD src0_sel:BYTE_0
	v_cvt_f16_i16_sdwa v121, sext(v121) dst_sel:DWORD dst_unused:UNUSED_PAD src0_sel:BYTE_0
	v_pack_b32_f16 v112, v112, v121
	s_waitcnt vmcnt(5)
	v_pk_lshrrev_b16 v121, 8, v0 op_sel:[1,0] op_sel_hi:[0,0]
	v_pk_lshrrev_b16 v0, 8, v0 op_sel:[1,1] op_sel_hi:[0,1]
	s_waitcnt vmcnt(4)
	v_mul_u32_u24_e32 v1, 0x10001, v1
	v_lshrrev_b32_e32 v125, 16, v121
	v_cvt_f16_i16_sdwa v121, sext(v121) dst_sel:DWORD dst_unused:UNUSED_PAD src0_sel:BYTE_0
	s_waitcnt vmcnt(0)
	v_mul_u32_u24_e32 v118, 0x10001, v118
	v_cvt_f16_i16_sdwa v125, sext(v125) dst_sel:DWORD dst_unused:UNUSED_PAD src0_sel:BYTE_0
	v_pk_mul_f16 v112, v112, v118
	v_pack_b32_f16 v121, v121, v125
	v_lshrrev_b32_e32 v125, 16, v0
	v_cvt_f16_i16_sdwa v0, sext(v0) dst_sel:DWORD dst_unused:UNUSED_PAD src0_sel:BYTE_0
	v_cvt_f16_i16_sdwa v125, sext(v125) dst_sel:DWORD dst_unused:UNUSED_PAD src0_sel:BYTE_0
	v_pack_b32_f16 v0, v0, v125
	v_pk_mul_f16 v125, v119, v118
	v_mul_u32_u24_e32 v118, 0x10001, v120
	v_pk_mul_f16 v126, v121, v118
	v_pk_mul_f16 v0, v0, v118
	v_mul_u32_u24_sdwa v121, v38, v195 dst_sel:DWORD dst_unused:UNUSED_PAD src0_sel:WORD_0 src1_sel:DWORD
	v_mul_u32_u24_sdwa v38, v38, v195 dst_sel:DWORD dst_unused:UNUSED_PAD src0_sel:WORD_1 src1_sel:DWORD
	v_pk_fma_f16 v118, v125, v121, v202
	v_pk_fma_f16 v119, v112, v121, v203
	;; [unrolled: 1-line block ×5, first 2 shown]
	global_load_ushort v0, v[208:209], off
	v_pk_fma_f16 v202, v125, v130, v42
	v_pk_lshrrev_b16 v42, 8, v124 op_sel:[1,0] op_sel_hi:[0,0]
	v_pk_fma_f16 v203, v112, v130, v43
	v_pk_fma_f16 v204, v126, v130, v44
	ds_write_b128 v129, v[118:121]
	v_lshrrev_b32_e32 v43, 16, v42
	v_cvt_f16_i16_sdwa v42, sext(v42) dst_sel:DWORD dst_unused:UNUSED_PAD src0_sel:BYTE_0
	ds_write_b128 v129, v[202:205] offset:16
	v_cvt_f16_i16_sdwa v43, sext(v43) dst_sel:DWORD dst_unused:UNUSED_PAD src0_sel:BYTE_0
	v_pack_b32_f16 v42, v42, v43
	v_pk_lshrrev_b16 v43, 8, v124 op_sel:[1,1] op_sel_hi:[0,1]
	v_pk_mul_f16 v112, v42, v1
	v_lshrrev_b32_e32 v44, 16, v43
	v_cvt_f16_i16_sdwa v43, sext(v43) dst_sel:DWORD dst_unused:UNUSED_PAD src0_sel:BYTE_0
	v_pk_lshrrev_b16 v42, 8, v113 op_sel:[1,0] op_sel_hi:[0,0]
	v_cvt_f16_i16_sdwa v44, sext(v44) dst_sel:DWORD dst_unused:UNUSED_PAD src0_sel:BYTE_0
	v_pack_b32_f16 v43, v43, v44
	v_pk_mul_f16 v1, v43, v1
	v_lshrrev_b32_e32 v43, 16, v42
	v_cvt_f16_i16_sdwa v42, sext(v42) dst_sel:DWORD dst_unused:UNUSED_PAD src0_sel:BYTE_0
	v_cvt_f16_i16_sdwa v43, sext(v43) dst_sel:DWORD dst_unused:UNUSED_PAD src0_sel:BYTE_0
	v_pack_b32_f16 v42, v42, v43
	v_pk_lshrrev_b16 v43, 8, v113 op_sel:[1,1] op_sel_hi:[0,1]
	v_lshrrev_b32_e32 v44, 16, v43
	v_cvt_f16_i16_sdwa v43, sext(v43) dst_sel:DWORD dst_unused:UNUSED_PAD src0_sel:BYTE_0
	v_cvt_f16_i16_sdwa v44, sext(v44) dst_sel:DWORD dst_unused:UNUSED_PAD src0_sel:BYTE_0
	v_pack_b32_f16 v43, v43, v44
	s_waitcnt vmcnt(0)
	v_mul_u32_u24_e32 v0, 0x10001, v0
	v_pk_mul_f16 v113, v42, v0
	v_pk_mul_f16 v0, v43, v0
	v_pk_fma_f16 v43, v1, v38, v119
	v_pk_fma_f16 v119, v1, v34, v203
	v_add_co_u32 v1, vcc_lo, s3, v142
	v_pk_fma_f16 v45, v0, v38, v121
	v_pk_fma_f16 v121, v0, v34, v205
	v_ashrrev_i32_e32 v0, 31, v142
	v_pk_fma_f16 v42, v112, v38, v118
	v_pk_fma_f16 v118, v112, v34, v202
	;; [unrolled: 1-line block ×4, first 2 shown]
	v_add_co_ci_u32_e64 v0, null, s11, v0, vcc_lo
	v_add_co_u32 v202, vcc_lo, v1, v197
	v_add_co_ci_u32_e64 v203, null, v0, v196, vcc_lo
	v_add_co_u32 v204, vcc_lo, v202, v190
	v_add_co_ci_u32_e64 v205, null, 0, v203, vcc_lo
	global_load_dword v34, v[204:205], off offset:2
	v_add_co_u32 v204, vcc_lo, v1, v199
	v_add_co_ci_u32_e64 v205, null, v0, v198, vcc_lo
	v_ashrrev_i32_e32 v0, 31, v143
	v_add_co_u32 v1, vcc_lo, s3, v143
	v_add_co_ci_u32_e64 v0, null, s11, v0, vcc_lo
	v_add_co_u32 v206, vcc_lo, v1, v197
	v_add_co_ci_u32_e64 v207, null, v0, v196, vcc_lo
	;; [unrolled: 2-line block ×4, first 2 shown]
	global_load_ushort v0, v[204:205], off
	v_add_co_u32 v204, vcc_lo, v208, v193
	v_add_co_ci_u32_e64 v205, null, 0, v209, vcc_lo
	global_load_dword v1, v[204:205], off offset:2
	v_add_co_u32 v204, vcc_lo, v206, v190
	v_add_co_ci_u32_e64 v205, null, 0, v207, vcc_lo
	s_clause 0x2
	global_load_dword v38, v[204:205], off offset:2
	global_load_dword v112, v[210:211], off offset:2
	global_load_ushort v113, v[202:203], off
	ds_write_b128 v129, v[42:45]
	ds_write_b128 v129, v[118:121] offset:16
	s_waitcnt vmcnt(5)
	v_pk_lshrrev_b16 v124, 8, v34 op_sel:[1,0] op_sel_hi:[0,0]
	v_pk_lshrrev_b16 v34, 8, v34 op_sel:[1,1] op_sel_hi:[0,1]
	v_lshrrev_b32_e32 v125, 16, v124
	v_cvt_f16_i16_sdwa v124, sext(v124) dst_sel:DWORD dst_unused:UNUSED_PAD src0_sel:BYTE_0
	v_cvt_f16_i16_sdwa v125, sext(v125) dst_sel:DWORD dst_unused:UNUSED_PAD src0_sel:BYTE_0
	v_pack_b32_f16 v124, v124, v125
	v_lshrrev_b32_e32 v125, 16, v34
	v_cvt_f16_i16_sdwa v34, sext(v34) dst_sel:DWORD dst_unused:UNUSED_PAD src0_sel:BYTE_0
	v_cvt_f16_i16_sdwa v125, sext(v125) dst_sel:DWORD dst_unused:UNUSED_PAD src0_sel:BYTE_0
	s_waitcnt vmcnt(4)
	v_mul_u32_u24_e32 v0, 0x10001, v0
	v_pack_b32_f16 v34, v34, v125
	s_waitcnt vmcnt(0)
	v_mul_u32_u24_e32 v113, 0x10001, v113
	v_pk_mul_f16 v124, v124, v113
	v_pk_mul_f16 v34, v34, v113
	v_pk_lshrrev_b16 v113, 8, v112 op_sel:[1,0] op_sel_hi:[0,0]
	v_pk_lshrrev_b16 v112, 8, v112 op_sel:[1,1] op_sel_hi:[0,1]
	v_lshrrev_b32_e32 v125, 16, v113
	v_cvt_f16_i16_sdwa v113, sext(v113) dst_sel:DWORD dst_unused:UNUSED_PAD src0_sel:BYTE_0
	v_cvt_f16_i16_sdwa v125, sext(v125) dst_sel:DWORD dst_unused:UNUSED_PAD src0_sel:BYTE_0
	v_pack_b32_f16 v113, v113, v125
	v_lshrrev_b32_e32 v125, 16, v112
	v_cvt_f16_i16_sdwa v112, sext(v112) dst_sel:DWORD dst_unused:UNUSED_PAD src0_sel:BYTE_0
	v_pk_mul_f16 v113, v113, v0
	v_cvt_f16_i16_sdwa v125, sext(v125) dst_sel:DWORD dst_unused:UNUSED_PAD src0_sel:BYTE_0
	v_pack_b32_f16 v112, v112, v125
	v_pk_mul_f16 v0, v112, v0
	v_mul_u32_u24_sdwa v112, v39, v195 dst_sel:DWORD dst_unused:UNUSED_PAD src0_sel:WORD_0 src1_sel:DWORD
	v_pk_fma_f16 v205, v0, v112, v45
	v_mul_u32_u24_sdwa v45, v35, v195 dst_sel:DWORD dst_unused:UNUSED_PAD src0_sel:WORD_0 src1_sel:DWORD
	v_pk_fma_f16 v202, v124, v112, v42
	v_pk_fma_f16 v203, v34, v112, v43
	;; [unrolled: 1-line block ×3, first 2 shown]
	v_pk_lshrrev_b16 v112, 8, v38 op_sel:[1,0] op_sel_hi:[0,0]
	v_pk_fma_f16 v42, v124, v45, v118
	v_pk_fma_f16 v43, v34, v45, v119
	;; [unrolled: 1-line block ×4, first 2 shown]
	s_clause 0x1
	global_load_ushort v0, v[206:207], off
	global_load_ushort v34, v[208:209], off
	v_lshrrev_b32_e32 v113, 16, v112
	v_cvt_f16_i16_sdwa v112, sext(v112) dst_sel:DWORD dst_unused:UNUSED_PAD src0_sel:BYTE_0
	v_pk_lshrrev_b16 v38, 8, v38 op_sel:[1,1] op_sel_hi:[0,1]
	ds_write_b128 v129, v[202:205]
	ds_write_b128 v129, v[42:45] offset:16
	v_cvt_f16_i16_sdwa v113, sext(v113) dst_sel:DWORD dst_unused:UNUSED_PAD src0_sel:BYTE_0
	v_pack_b32_f16 v112, v112, v113
	v_lshrrev_b32_e32 v113, 16, v38
	v_cvt_f16_i16_sdwa v38, sext(v38) dst_sel:DWORD dst_unused:UNUSED_PAD src0_sel:BYTE_0
	v_cvt_f16_i16_sdwa v113, sext(v113) dst_sel:DWORD dst_unused:UNUSED_PAD src0_sel:BYTE_0
	v_pack_b32_f16 v38, v38, v113
	v_pk_lshrrev_b16 v113, 8, v1 op_sel:[1,0] op_sel_hi:[0,0]
	v_pk_lshrrev_b16 v1, 8, v1 op_sel:[1,1] op_sel_hi:[0,1]
	v_lshrrev_b32_e32 v118, 16, v113
	v_cvt_f16_i16_sdwa v113, sext(v113) dst_sel:DWORD dst_unused:UNUSED_PAD src0_sel:BYTE_0
	v_cvt_f16_i16_sdwa v118, sext(v118) dst_sel:DWORD dst_unused:UNUSED_PAD src0_sel:BYTE_0
	v_pack_b32_f16 v113, v113, v118
	v_lshrrev_b32_e32 v118, 16, v1
	v_cvt_f16_i16_sdwa v1, sext(v1) dst_sel:DWORD dst_unused:UNUSED_PAD src0_sel:BYTE_0
	v_cvt_f16_i16_sdwa v118, sext(v118) dst_sel:DWORD dst_unused:UNUSED_PAD src0_sel:BYTE_0
	v_pack_b32_f16 v1, v1, v118
	s_waitcnt vmcnt(1)
	v_mul_u32_u24_e32 v0, 0x10001, v0
	s_waitcnt vmcnt(0)
	v_mul_u32_u24_e32 v34, 0x10001, v34
	v_pk_mul_f16 v112, v112, v0
	v_pk_mul_f16 v0, v38, v0
	;; [unrolled: 1-line block ×4, first 2 shown]
	v_mul_u32_u24_sdwa v34, v39, v195 dst_sel:DWORD dst_unused:UNUSED_PAD src0_sel:WORD_1 src1_sel:DWORD
	v_pk_fma_f16 v118, v112, v34, v202
	v_pk_fma_f16 v119, v0, v34, v203
	;; [unrolled: 1-line block ×4, first 2 shown]
	v_mul_u32_u24_sdwa v34, v35, v195 dst_sel:DWORD dst_unused:UNUSED_PAD src0_sel:WORD_1 src1_sel:DWORD
	v_pk_fma_f16 v203, v0, v34, v43
	v_ashrrev_i32_e32 v0, 31, v144
	v_pk_fma_f16 v205, v1, v34, v45
	v_add_co_u32 v1, vcc_lo, s3, v144
	v_pk_fma_f16 v202, v112, v34, v42
	v_add_co_ci_u32_e64 v0, null, s11, v0, vcc_lo
	v_pk_fma_f16 v204, v38, v34, v44
	v_add_co_u32 v34, vcc_lo, v1, v197
	v_add_co_ci_u32_e64 v35, null, v0, v196, vcc_lo
	v_add_co_u32 v38, vcc_lo, v34, v190
	v_add_co_ci_u32_e64 v39, null, 0, v35, vcc_lo
	global_load_dword v44, v[38:39], off offset:2
	v_add_co_u32 v38, vcc_lo, v1, v199
	v_add_co_ci_u32_e64 v39, null, v0, v198, vcc_lo
	v_ashrrev_i32_e32 v0, 31, v145
	v_add_co_u32 v1, vcc_lo, s3, v145
	v_add_co_ci_u32_e64 v0, null, s11, v0, vcc_lo
	v_add_co_u32 v206, vcc_lo, v1, v197
	v_add_co_ci_u32_e64 v207, null, v0, v196, vcc_lo
	;; [unrolled: 2-line block ×4, first 2 shown]
	global_load_ushort v0, v[38:39], off
	v_add_co_u32 v38, vcc_lo, v208, v193
	v_add_co_ci_u32_e64 v39, null, 0, v209, vcc_lo
	global_load_dword v1, v[38:39], off offset:2
	v_add_co_u32 v38, vcc_lo, v206, v190
	v_add_co_ci_u32_e64 v39, null, 0, v207, vcc_lo
	s_clause 0x2
	global_load_dword v38, v[38:39], off offset:2
	global_load_dword v39, v[42:43], off offset:2
	global_load_ushort v34, v[34:35], off
	ds_write_b128 v129, v[118:121]
	ds_write_b128 v129, v[202:205] offset:16
	s_waitcnt vmcnt(5)
	v_pk_lshrrev_b16 v35, 8, v44 op_sel:[1,0] op_sel_hi:[0,0]
	v_lshrrev_b32_e32 v42, 16, v35
	v_cvt_f16_i16_sdwa v35, sext(v35) dst_sel:DWORD dst_unused:UNUSED_PAD src0_sel:BYTE_0
	v_cvt_f16_i16_sdwa v42, sext(v42) dst_sel:DWORD dst_unused:UNUSED_PAD src0_sel:BYTE_0
	v_pack_b32_f16 v35, v35, v42
	v_pk_lshrrev_b16 v42, 8, v44 op_sel:[1,1] op_sel_hi:[0,1]
	v_lshrrev_b32_e32 v43, 16, v42
	v_cvt_f16_i16_sdwa v42, sext(v42) dst_sel:DWORD dst_unused:UNUSED_PAD src0_sel:BYTE_0
	s_waitcnt vmcnt(4)
	v_mul_u32_u24_e32 v0, 0x10001, v0
	v_cvt_f16_i16_sdwa v43, sext(v43) dst_sel:DWORD dst_unused:UNUSED_PAD src0_sel:BYTE_0
	v_pack_b32_f16 v42, v42, v43
	s_waitcnt vmcnt(0)
	v_mul_u32_u24_e32 v34, 0x10001, v34
	v_pk_mul_f16 v35, v35, v34
	v_pk_mul_f16 v34, v42, v34
	v_pk_lshrrev_b16 v42, 8, v39 op_sel:[1,0] op_sel_hi:[0,0]
	v_pk_lshrrev_b16 v39, 8, v39 op_sel:[1,1] op_sel_hi:[0,1]
	v_lshrrev_b32_e32 v43, 16, v42
	v_cvt_f16_i16_sdwa v42, sext(v42) dst_sel:DWORD dst_unused:UNUSED_PAD src0_sel:BYTE_0
	v_cvt_f16_i16_sdwa v43, sext(v43) dst_sel:DWORD dst_unused:UNUSED_PAD src0_sel:BYTE_0
	v_pack_b32_f16 v42, v42, v43
	v_lshrrev_b32_e32 v43, 16, v39
	v_cvt_f16_i16_sdwa v39, sext(v39) dst_sel:DWORD dst_unused:UNUSED_PAD src0_sel:BYTE_0
	v_pk_mul_f16 v112, v42, v0
	v_cvt_f16_i16_sdwa v43, sext(v43) dst_sel:DWORD dst_unused:UNUSED_PAD src0_sel:BYTE_0
	v_pack_b32_f16 v39, v39, v43
	v_pk_mul_f16 v0, v39, v0
	v_mul_u32_u24_sdwa v39, v40, v195 dst_sel:DWORD dst_unused:UNUSED_PAD src0_sel:WORD_0 src1_sel:DWORD
	v_pk_fma_f16 v42, v35, v39, v118
	v_pk_fma_f16 v43, v34, v39, v119
	v_pk_fma_f16 v44, v112, v39, v120
	v_pk_fma_f16 v45, v0, v39, v121
	v_mul_u32_u24_sdwa v39, v36, v195 dst_sel:DWORD dst_unused:UNUSED_PAD src0_sel:WORD_0 src1_sel:DWORD
	v_pk_fma_f16 v119, v34, v39, v203
	v_pk_fma_f16 v121, v0, v39, v205
	s_clause 0x1
	global_load_ushort v0, v[206:207], off
	global_load_ushort v34, v[208:209], off
	v_pk_fma_f16 v118, v35, v39, v202
	v_pk_lshrrev_b16 v35, 8, v38 op_sel:[1,0] op_sel_hi:[0,0]
	v_pk_fma_f16 v120, v112, v39, v204
	v_pk_lshrrev_b16 v38, 8, v38 op_sel:[1,1] op_sel_hi:[0,1]
	ds_write_b128 v129, v[42:45]
	v_lshrrev_b32_e32 v39, 16, v35
	v_cvt_f16_i16_sdwa v35, sext(v35) dst_sel:DWORD dst_unused:UNUSED_PAD src0_sel:BYTE_0
	ds_write_b128 v129, v[118:121] offset:16
	v_cvt_f16_i16_sdwa v39, sext(v39) dst_sel:DWORD dst_unused:UNUSED_PAD src0_sel:BYTE_0
	v_pack_b32_f16 v35, v35, v39
	v_lshrrev_b32_e32 v39, 16, v38
	v_cvt_f16_i16_sdwa v38, sext(v38) dst_sel:DWORD dst_unused:UNUSED_PAD src0_sel:BYTE_0
	v_cvt_f16_i16_sdwa v39, sext(v39) dst_sel:DWORD dst_unused:UNUSED_PAD src0_sel:BYTE_0
	v_pack_b32_f16 v38, v38, v39
	s_waitcnt vmcnt(1)
	v_mul_u32_u24_e32 v0, 0x10001, v0
	s_waitcnt vmcnt(0)
	v_mul_u32_u24_e32 v34, 0x10001, v34
	v_pk_mul_f16 v35, v35, v0
	v_pk_mul_f16 v0, v38, v0
	v_pk_lshrrev_b16 v38, 8, v1 op_sel:[1,0] op_sel_hi:[0,0]
	v_pk_lshrrev_b16 v1, 8, v1 op_sel:[1,1] op_sel_hi:[0,1]
	v_lshrrev_b32_e32 v39, 16, v38
	v_cvt_f16_i16_sdwa v38, sext(v38) dst_sel:DWORD dst_unused:UNUSED_PAD src0_sel:BYTE_0
	v_cvt_f16_i16_sdwa v39, sext(v39) dst_sel:DWORD dst_unused:UNUSED_PAD src0_sel:BYTE_0
	v_pack_b32_f16 v38, v38, v39
	v_lshrrev_b32_e32 v39, 16, v1
	v_cvt_f16_i16_sdwa v1, sext(v1) dst_sel:DWORD dst_unused:UNUSED_PAD src0_sel:BYTE_0
	v_pk_mul_f16 v38, v38, v34
	v_cvt_f16_i16_sdwa v39, sext(v39) dst_sel:DWORD dst_unused:UNUSED_PAD src0_sel:BYTE_0
	v_pack_b32_f16 v1, v1, v39
	v_pk_mul_f16 v1, v1, v34
	v_mul_u32_u24_sdwa v34, v40, v195 dst_sel:DWORD dst_unused:UNUSED_PAD src0_sel:WORD_1 src1_sel:DWORD
	v_pk_fma_f16 v202, v35, v34, v42
	v_pk_fma_f16 v203, v0, v34, v43
	;; [unrolled: 1-line block ×4, first 2 shown]
	v_mul_u32_u24_sdwa v34, v36, v195 dst_sel:DWORD dst_unused:UNUSED_PAD src0_sel:WORD_1 src1_sel:DWORD
	v_pk_fma_f16 v43, v0, v34, v119
	v_ashrrev_i32_e32 v0, 31, v149
	v_pk_fma_f16 v45, v1, v34, v121
	v_add_co_u32 v1, vcc_lo, s3, v149
	v_pk_fma_f16 v42, v35, v34, v118
	v_add_co_ci_u32_e64 v0, null, s11, v0, vcc_lo
	v_pk_fma_f16 v44, v38, v34, v120
	v_add_co_u32 v34, vcc_lo, v1, v197
	v_add_co_ci_u32_e64 v35, null, v0, v196, vcc_lo
	v_add_co_u32 v38, vcc_lo, v34, v190
	v_add_co_ci_u32_e64 v39, null, 0, v35, vcc_lo
	global_load_dword v36, v[38:39], off offset:2
	v_add_co_u32 v38, vcc_lo, v1, v199
	v_add_co_ci_u32_e64 v39, null, v0, v198, vcc_lo
	v_ashrrev_i32_e32 v1, 31, v152
	v_add_co_u32 v118, vcc_lo, v38, v193
	v_add_co_ci_u32_e64 v119, null, 0, v39, vcc_lo
	v_add_co_u32 v40, vcc_lo, s3, v152
	v_add_co_ci_u32_e64 v1, null, s11, v1, vcc_lo
	global_load_dword v0, v[118:119], off offset:2
	v_add_co_u32 v118, vcc_lo, v40, v197
	v_add_co_ci_u32_e64 v119, null, v1, v196, vcc_lo
	v_add_co_u32 v207, vcc_lo, v40, v199
	v_add_co_ci_u32_e64 v208, null, v1, v198, vcc_lo
	;; [unrolled: 2-line block ×3, first 2 shown]
	global_load_ushort v1, v[118:119], off
	v_add_co_u32 v118, vcc_lo, v207, v193
	v_add_co_ci_u32_e64 v119, null, 0, v208, vcc_lo
	s_clause 0x3
	global_load_dword v40, v[118:119], off offset:2
	global_load_dword v112, v[120:121], off offset:2
	global_load_ushort v38, v[38:39], off
	global_load_ushort v34, v[34:35], off
	ds_write_b128 v129, v[202:205]
	ds_write_b128 v129, v[42:45] offset:16
	s_waitcnt vmcnt(6)
	v_pk_lshrrev_b16 v35, 8, v36 op_sel:[1,0] op_sel_hi:[0,0]
	v_pk_lshrrev_b16 v36, 8, v36 op_sel:[1,1] op_sel_hi:[0,1]
	v_lshrrev_b32_e32 v39, 16, v35
	v_cvt_f16_i16_sdwa v35, sext(v35) dst_sel:DWORD dst_unused:UNUSED_PAD src0_sel:BYTE_0
	v_cvt_f16_i16_sdwa v39, sext(v39) dst_sel:DWORD dst_unused:UNUSED_PAD src0_sel:BYTE_0
	v_pack_b32_f16 v35, v35, v39
	v_lshrrev_b32_e32 v39, 16, v36
	v_cvt_f16_i16_sdwa v36, sext(v36) dst_sel:DWORD dst_unused:UNUSED_PAD src0_sel:BYTE_0
	v_cvt_f16_i16_sdwa v39, sext(v39) dst_sel:DWORD dst_unused:UNUSED_PAD src0_sel:BYTE_0
	v_pack_b32_f16 v36, v36, v39
	s_waitcnt vmcnt(5)
	v_pk_lshrrev_b16 v39, 8, v0 op_sel:[1,0] op_sel_hi:[0,0]
	v_pk_lshrrev_b16 v0, 8, v0 op_sel:[1,1] op_sel_hi:[0,1]
	s_waitcnt vmcnt(4)
	v_mul_u32_u24_e32 v1, 0x10001, v1
	v_lshrrev_b32_e32 v113, 16, v39
	v_cvt_f16_i16_sdwa v39, sext(v39) dst_sel:DWORD dst_unused:UNUSED_PAD src0_sel:BYTE_0
	s_waitcnt vmcnt(0)
	v_mul_u32_u24_e32 v34, 0x10001, v34
	v_cvt_f16_i16_sdwa v113, sext(v113) dst_sel:DWORD dst_unused:UNUSED_PAD src0_sel:BYTE_0
	v_pk_mul_f16 v35, v35, v34
	v_pk_mul_f16 v34, v36, v34
	v_lshrrev_b32_e32 v36, 16, v0
	v_cvt_f16_i16_sdwa v0, sext(v0) dst_sel:DWORD dst_unused:UNUSED_PAD src0_sel:BYTE_0
	v_pack_b32_f16 v39, v39, v113
	v_add_co_u32 v113, vcc_lo, s3, v156
	v_cvt_f16_i16_sdwa v36, sext(v36) dst_sel:DWORD dst_unused:UNUSED_PAD src0_sel:BYTE_0
	v_pack_b32_f16 v0, v0, v36
	v_mul_u32_u24_e32 v36, 0x10001, v38
	v_pk_mul_f16 v38, v39, v36
	v_pk_mul_f16 v0, v0, v36
	v_mul_u32_u24_sdwa v36, v41, v195 dst_sel:DWORD dst_unused:UNUSED_PAD src0_sel:WORD_0 src1_sel:DWORD
	v_pk_fma_f16 v118, v35, v36, v202
	v_pk_fma_f16 v119, v34, v36, v203
	;; [unrolled: 1-line block ×4, first 2 shown]
	v_mul_u32_u24_sdwa v36, v37, v195 dst_sel:DWORD dst_unused:UNUSED_PAD src0_sel:WORD_0 src1_sel:DWORD
	ds_write_b128 v129, v[118:121]
	v_pk_fma_f16 v206, v0, v36, v45
	global_load_ushort v0, v[207:208], off
	v_pk_fma_f16 v204, v34, v36, v43
	v_pk_lshrrev_b16 v34, 8, v112 op_sel:[1,0] op_sel_hi:[0,0]
	v_pk_fma_f16 v203, v35, v36, v42
	v_pk_fma_f16 v205, v38, v36, v44
	v_pk_lshrrev_b16 v36, 8, v112 op_sel:[1,1] op_sel_hi:[0,1]
	v_mul_u32_u24_sdwa v38, v41, v195 dst_sel:DWORD dst_unused:UNUSED_PAD src0_sel:WORD_1 src1_sel:DWORD
	v_lshrrev_b32_e32 v35, 16, v34
	v_cvt_f16_i16_sdwa v34, sext(v34) dst_sel:DWORD dst_unused:UNUSED_PAD src0_sel:BYTE_0
	v_mul_u32_u24_sdwa v112, v37, v195 dst_sel:DWORD dst_unused:UNUSED_PAD src0_sel:WORD_1 src1_sel:DWORD
	v_lshrrev_b32_e32 v39, 16, v36
	ds_write_b128 v129, v[203:206] offset:16
	v_cvt_f16_i16_sdwa v35, sext(v35) dst_sel:DWORD dst_unused:UNUSED_PAD src0_sel:BYTE_0
	v_pack_b32_f16 v34, v34, v35
	v_cvt_f16_i16_sdwa v35, sext(v36) dst_sel:DWORD dst_unused:UNUSED_PAD src0_sel:BYTE_0
	v_cvt_f16_i16_sdwa v36, sext(v39) dst_sel:DWORD dst_unused:UNUSED_PAD src0_sel:BYTE_0
	v_pk_lshrrev_b16 v39, 8, v40 op_sel:[1,0] op_sel_hi:[0,0]
	v_pk_lshrrev_b16 v40, 8, v40 op_sel:[1,1] op_sel_hi:[0,1]
	v_pack_b32_f16 v35, v35, v36
	v_lshrrev_b32_e32 v36, 16, v39
	v_cvt_f16_i16_sdwa v39, sext(v39) dst_sel:DWORD dst_unused:UNUSED_PAD src0_sel:BYTE_0
	v_cvt_f16_i16_sdwa v36, sext(v36) dst_sel:DWORD dst_unused:UNUSED_PAD src0_sel:BYTE_0
	v_pack_b32_f16 v36, v39, v36
	v_lshrrev_b32_e32 v39, 16, v40
	v_cvt_f16_i16_sdwa v40, sext(v40) dst_sel:DWORD dst_unused:UNUSED_PAD src0_sel:BYTE_0
	v_cvt_f16_i16_sdwa v39, sext(v39) dst_sel:DWORD dst_unused:UNUSED_PAD src0_sel:BYTE_0
	v_pack_b32_f16 v39, v40, v39
	v_pk_mul_f16 v40, v34, v1
	v_pk_mul_f16 v1, v35, v1
	v_pk_fma_f16 v34, v40, v38, v118
	v_pk_fma_f16 v35, v1, v38, v119
	s_waitcnt vmcnt(0)
	v_mul_u32_u24_e32 v0, 0x10001, v0
	v_pk_mul_f16 v41, v36, v0
	v_pk_mul_f16 v0, v39, v0
	v_ashrrev_i32_e32 v39, 31, v156
	v_pk_fma_f16 v36, v41, v38, v120
	v_pk_fma_f16 v37, v0, v38, v121
	v_add_co_ci_u32_e64 v118, null, s11, v39, vcc_lo
	v_add_co_u32 v42, vcc_lo, v113, v197
	v_pk_fma_f16 v38, v40, v112, v203
	v_add_co_ci_u32_e64 v43, null, v118, v196, vcc_lo
	v_add_co_u32 v44, vcc_lo, v42, v190
	v_pk_fma_f16 v40, v41, v112, v205
	v_add_co_ci_u32_e64 v45, null, 0, v43, vcc_lo
	v_pk_fma_f16 v41, v0, v112, v206
	v_ashrrev_i32_e32 v0, 31, v159
	v_pk_fma_f16 v39, v1, v112, v204
	global_load_dword v202, v[44:45], off offset:2
	v_add_co_u32 v44, vcc_lo, v113, v199
	v_add_co_ci_u32_e64 v45, null, v118, v198, vcc_lo
	v_add_co_u32 v118, vcc_lo, v44, v193
	v_add_co_ci_u32_e64 v119, null, 0, v45, vcc_lo
	;; [unrolled: 2-line block ×3, first 2 shown]
	global_load_dword v203, v[118:119], off offset:2
	v_add_co_u32 v120, vcc_lo, v1, v197
	v_add_co_ci_u32_e64 v121, null, v0, v196, vcc_lo
	v_add_co_u32 v118, vcc_lo, v1, v199
	v_add_co_ci_u32_e64 v119, null, v0, v198, vcc_lo
	v_add_co_u32 v204, vcc_lo, v120, v190
	v_add_co_ci_u32_e64 v205, null, 0, v121, vcc_lo
	global_load_ushort v0, v[120:121], off
	v_add_co_u32 v120, vcc_lo, v118, v193
	v_add_co_ci_u32_e64 v121, null, 0, v119, vcc_lo
	s_clause 0x3
	global_load_dword v1, v[120:121], off offset:2
	global_load_dword v112, v[204:205], off offset:2
	global_load_ushort v44, v[44:45], off
	global_load_ushort v42, v[42:43], off
	s_waitcnt vmcnt(6)
	v_pk_lshrrev_b16 v43, 8, v202 op_sel:[1,0] op_sel_hi:[0,0]
	v_pk_lshrrev_b16 v113, 8, v202 op_sel:[1,1] op_sel_hi:[0,1]
	v_lshrrev_b32_e32 v45, 16, v43
	v_cvt_f16_i16_sdwa v43, sext(v43) dst_sel:DWORD dst_unused:UNUSED_PAD src0_sel:BYTE_0
	v_lshrrev_b32_e32 v120, 16, v113
	v_cvt_f16_i16_sdwa v45, sext(v45) dst_sel:DWORD dst_unused:UNUSED_PAD src0_sel:BYTE_0
	s_waitcnt vmcnt(5)
	v_pk_lshrrev_b16 v121, 8, v203 op_sel:[1,1] op_sel_hi:[0,1]
	v_pack_b32_f16 v43, v43, v45
	v_cvt_f16_i16_sdwa v45, sext(v113) dst_sel:DWORD dst_unused:UNUSED_PAD src0_sel:BYTE_0
	v_cvt_f16_i16_sdwa v113, sext(v120) dst_sel:DWORD dst_unused:UNUSED_PAD src0_sel:BYTE_0
	v_pk_lshrrev_b16 v120, 8, v203 op_sel:[1,0] op_sel_hi:[0,0]
	v_pack_b32_f16 v45, v45, v113
	v_lshrrev_b32_e32 v113, 16, v120
	v_cvt_f16_i16_sdwa v120, sext(v120) dst_sel:DWORD dst_unused:UNUSED_PAD src0_sel:BYTE_0
	s_waitcnt vmcnt(4)
	v_mul_u32_u24_e32 v0, 0x10001, v0
	v_cvt_f16_i16_sdwa v113, sext(v113) dst_sel:DWORD dst_unused:UNUSED_PAD src0_sel:BYTE_0
	v_pack_b32_f16 v113, v120, v113
	v_lshrrev_b32_e32 v120, 16, v121
	v_cvt_f16_i16_sdwa v121, sext(v121) dst_sel:DWORD dst_unused:UNUSED_PAD src0_sel:BYTE_0
	s_waitcnt vmcnt(0)
	v_mul_u32_u24_e32 v42, 0x10001, v42
	v_mul_u32_u24_e32 v44, 0x10001, v44
	v_cvt_f16_i16_sdwa v120, sext(v120) dst_sel:DWORD dst_unused:UNUSED_PAD src0_sel:BYTE_0
	v_pk_mul_f16 v124, v45, v42
	v_pk_mul_f16 v113, v113, v44
	v_pack_b32_f16 v120, v121, v120
	v_pk_mul_f16 v121, v43, v42
	v_pk_mul_f16 v120, v120, v44
	ds_read_b128 v[202:205], v188 offset:32
	ds_read_b128 v[42:45], v188 offset:48
	ds_write_b128 v129, v[34:37]
	s_waitcnt lgkmcnt(2)
	v_mul_u32_u24_sdwa v125, v202, v195 dst_sel:DWORD dst_unused:UNUSED_PAD src0_sel:WORD_0 src1_sel:DWORD
	v_pk_fma_f16 v206, v121, v125, v34
	v_pk_fma_f16 v207, v124, v125, v35
	;; [unrolled: 1-line block ×4, first 2 shown]
	ds_read_b128 v[210:213], v188 offset:288
	ds_read_b128 v[34:37], v188 offset:304
	ds_write_b128 v129, v[38:41] offset:16
	ds_write_b128 v129, v[206:209]
	s_waitcnt lgkmcnt(3)
	v_mul_u32_u24_sdwa v125, v210, v195 dst_sel:DWORD dst_unused:UNUSED_PAD src0_sel:WORD_0 src1_sel:DWORD
	v_pk_fma_f16 v214, v121, v125, v38
	global_load_ushort v38, v[118:119], off
	v_pk_fma_f16 v215, v124, v125, v39
	v_pk_lshrrev_b16 v39, 8, v112 op_sel:[1,0] op_sel_hi:[0,0]
	v_pk_fma_f16 v216, v113, v125, v40
	v_pk_fma_f16 v217, v120, v125, v41
	v_mul_u32_u24_sdwa v121, v210, v195 dst_sel:DWORD dst_unused:UNUSED_PAD src0_sel:WORD_1 src1_sel:DWORD
	v_lshrrev_b32_e32 v40, 16, v39
	v_cvt_f16_i16_sdwa v39, sext(v39) dst_sel:DWORD dst_unused:UNUSED_PAD src0_sel:BYTE_0
	ds_write_b128 v129, v[214:217] offset:16
	v_cvt_f16_i16_sdwa v40, sext(v40) dst_sel:DWORD dst_unused:UNUSED_PAD src0_sel:BYTE_0
	v_pack_b32_f16 v39, v39, v40
	v_pk_lshrrev_b16 v40, 8, v112 op_sel:[1,1] op_sel_hi:[0,1]
	v_pk_mul_f16 v112, v39, v0
	v_lshrrev_b32_e32 v41, 16, v40
	v_cvt_f16_i16_sdwa v40, sext(v40) dst_sel:DWORD dst_unused:UNUSED_PAD src0_sel:BYTE_0
	v_pk_lshrrev_b16 v39, 8, v1 op_sel:[1,0] op_sel_hi:[0,0]
	v_pk_lshrrev_b16 v1, 8, v1 op_sel:[1,1] op_sel_hi:[0,1]
	v_pk_fma_f16 v118, v112, v121, v214
	v_cvt_f16_i16_sdwa v41, sext(v41) dst_sel:DWORD dst_unused:UNUSED_PAD src0_sel:BYTE_0
	v_pack_b32_f16 v40, v40, v41
	v_mul_u32_u24_sdwa v41, v202, v195 dst_sel:DWORD dst_unused:UNUSED_PAD src0_sel:WORD_1 src1_sel:DWORD
	v_pk_mul_f16 v0, v40, v0
	v_lshrrev_b32_e32 v40, 16, v39
	v_cvt_f16_i16_sdwa v39, sext(v39) dst_sel:DWORD dst_unused:UNUSED_PAD src0_sel:BYTE_0
	v_pk_fma_f16 v119, v0, v121, v215
	v_cvt_f16_i16_sdwa v40, sext(v40) dst_sel:DWORD dst_unused:UNUSED_PAD src0_sel:BYTE_0
	v_pack_b32_f16 v39, v39, v40
	v_lshrrev_b32_e32 v40, 16, v1
	v_cvt_f16_i16_sdwa v1, sext(v1) dst_sel:DWORD dst_unused:UNUSED_PAD src0_sel:BYTE_0
	v_cvt_f16_i16_sdwa v40, sext(v40) dst_sel:DWORD dst_unused:UNUSED_PAD src0_sel:BYTE_0
	v_pack_b32_f16 v1, v1, v40
	s_waitcnt vmcnt(0)
	v_mul_u32_u24_e32 v38, 0x10001, v38
	v_pk_mul_f16 v113, v39, v38
	v_pk_mul_f16 v1, v1, v38
	v_pk_fma_f16 v39, v0, v41, v207
	v_ashrrev_i32_e32 v0, 31, v164
	v_pk_fma_f16 v38, v112, v41, v206
	v_pk_fma_f16 v40, v113, v41, v208
	;; [unrolled: 1-line block ×5, first 2 shown]
	v_add_co_u32 v1, vcc_lo, s3, v164
	v_add_co_ci_u32_e64 v0, null, s11, v0, vcc_lo
	v_add_co_u32 v206, vcc_lo, v1, v197
	v_add_co_ci_u32_e64 v207, null, v0, v196, vcc_lo
	;; [unrolled: 2-line block ×3, first 2 shown]
	global_load_dword v112, v[208:209], off offset:2
	v_add_co_u32 v208, vcc_lo, v1, v199
	v_add_co_ci_u32_e64 v209, null, v0, v198, vcc_lo
	v_ashrrev_i32_e32 v1, 31, v166
	v_add_co_u32 v214, vcc_lo, v208, v193
	v_add_co_ci_u32_e64 v215, null, 0, v209, vcc_lo
	v_add_co_u32 v113, vcc_lo, s3, v166
	v_add_co_ci_u32_e64 v1, null, s11, v1, vcc_lo
	global_load_dword v0, v[214:215], off offset:2
	v_add_co_u32 v214, vcc_lo, v113, v197
	v_add_co_ci_u32_e64 v215, null, v1, v196, vcc_lo
	v_add_co_u32 v216, vcc_lo, v113, v199
	v_add_co_ci_u32_e64 v217, null, v1, v198, vcc_lo
	;; [unrolled: 2-line block ×3, first 2 shown]
	global_load_ushort v1, v[214:215], off
	v_add_co_u32 v214, vcc_lo, v216, v193
	v_add_co_ci_u32_e64 v215, null, 0, v217, vcc_lo
	s_clause 0x3
	global_load_dword v113, v[214:215], off offset:2
	global_load_dword v124, v[218:219], off offset:2
	global_load_ushort v125, v[208:209], off
	global_load_ushort v126, v[206:207], off
	ds_write_b128 v129, v[38:41]
	ds_write_b128 v129, v[118:121] offset:16
	s_waitcnt vmcnt(6)
	v_pk_lshrrev_b16 v130, 8, v112 op_sel:[1,0] op_sel_hi:[0,0]
	v_pk_lshrrev_b16 v112, 8, v112 op_sel:[1,1] op_sel_hi:[0,1]
	v_lshrrev_b32_e32 v147, 16, v130
	v_cvt_f16_i16_sdwa v130, sext(v130) dst_sel:DWORD dst_unused:UNUSED_PAD src0_sel:BYTE_0
	v_cvt_f16_i16_sdwa v147, sext(v147) dst_sel:DWORD dst_unused:UNUSED_PAD src0_sel:BYTE_0
	v_pack_b32_f16 v130, v130, v147
	v_lshrrev_b32_e32 v147, 16, v112
	v_cvt_f16_i16_sdwa v112, sext(v112) dst_sel:DWORD dst_unused:UNUSED_PAD src0_sel:BYTE_0
	v_cvt_f16_i16_sdwa v147, sext(v147) dst_sel:DWORD dst_unused:UNUSED_PAD src0_sel:BYTE_0
	v_pack_b32_f16 v112, v112, v147
	s_waitcnt vmcnt(5)
	v_pk_lshrrev_b16 v147, 8, v0 op_sel:[1,0] op_sel_hi:[0,0]
	v_pk_lshrrev_b16 v0, 8, v0 op_sel:[1,1] op_sel_hi:[0,1]
	s_waitcnt vmcnt(4)
	v_mul_u32_u24_e32 v1, 0x10001, v1
	v_lshrrev_b32_e32 v151, 16, v147
	v_cvt_f16_i16_sdwa v147, sext(v147) dst_sel:DWORD dst_unused:UNUSED_PAD src0_sel:BYTE_0
	s_waitcnt vmcnt(1)
	v_mul_u32_u24_e32 v125, 0x10001, v125
	s_waitcnt vmcnt(0)
	v_mul_u32_u24_e32 v126, 0x10001, v126
	v_cvt_f16_i16_sdwa v151, sext(v151) dst_sel:DWORD dst_unused:UNUSED_PAD src0_sel:BYTE_0
	v_pk_mul_f16 v130, v130, v126
	v_pk_mul_f16 v112, v112, v126
	v_lshrrev_b32_e32 v126, 16, v0
	v_cvt_f16_i16_sdwa v0, sext(v0) dst_sel:DWORD dst_unused:UNUSED_PAD src0_sel:BYTE_0
	v_pack_b32_f16 v147, v147, v151
	v_cvt_f16_i16_sdwa v126, sext(v126) dst_sel:DWORD dst_unused:UNUSED_PAD src0_sel:BYTE_0
	v_pack_b32_f16 v0, v0, v126
	v_pk_mul_f16 v126, v147, v125
	v_pk_mul_f16 v0, v0, v125
	v_mul_u32_u24_sdwa v125, v203, v195 dst_sel:DWORD dst_unused:UNUSED_PAD src0_sel:WORD_0 src1_sel:DWORD
	v_pk_fma_f16 v209, v0, v125, v41
	v_mul_u32_u24_sdwa v41, v211, v195 dst_sel:DWORD dst_unused:UNUSED_PAD src0_sel:WORD_0 src1_sel:DWORD
	v_pk_fma_f16 v206, v130, v125, v38
	v_pk_fma_f16 v207, v112, v125, v39
	;; [unrolled: 1-line block ×7, first 2 shown]
	global_load_ushort v0, v[216:217], off
	v_pk_lshrrev_b16 v112, 8, v124 op_sel:[1,0] op_sel_hi:[0,0]
	ds_write_b128 v129, v[206:209]
	ds_write_b128 v129, v[38:41] offset:16
	v_lshrrev_b32_e32 v118, 16, v112
	v_cvt_f16_i16_sdwa v112, sext(v112) dst_sel:DWORD dst_unused:UNUSED_PAD src0_sel:BYTE_0
	v_cvt_f16_i16_sdwa v118, sext(v118) dst_sel:DWORD dst_unused:UNUSED_PAD src0_sel:BYTE_0
	v_pack_b32_f16 v112, v112, v118
	v_pk_lshrrev_b16 v118, 8, v124 op_sel:[1,1] op_sel_hi:[0,1]
	v_pk_mul_f16 v112, v112, v1
	v_lshrrev_b32_e32 v119, 16, v118
	v_cvt_f16_i16_sdwa v118, sext(v118) dst_sel:DWORD dst_unused:UNUSED_PAD src0_sel:BYTE_0
	v_cvt_f16_i16_sdwa v119, sext(v119) dst_sel:DWORD dst_unused:UNUSED_PAD src0_sel:BYTE_0
	v_pack_b32_f16 v118, v118, v119
	v_pk_mul_f16 v1, v118, v1
	v_pk_lshrrev_b16 v118, 8, v113 op_sel:[1,0] op_sel_hi:[0,0]
	v_pk_lshrrev_b16 v113, 8, v113 op_sel:[1,1] op_sel_hi:[0,1]
	v_lshrrev_b32_e32 v119, 16, v118
	v_cvt_f16_i16_sdwa v118, sext(v118) dst_sel:DWORD dst_unused:UNUSED_PAD src0_sel:BYTE_0
	v_cvt_f16_i16_sdwa v119, sext(v119) dst_sel:DWORD dst_unused:UNUSED_PAD src0_sel:BYTE_0
	v_pack_b32_f16 v118, v118, v119
	v_lshrrev_b32_e32 v119, 16, v113
	v_cvt_f16_i16_sdwa v113, sext(v113) dst_sel:DWORD dst_unused:UNUSED_PAD src0_sel:BYTE_0
	v_cvt_f16_i16_sdwa v119, sext(v119) dst_sel:DWORD dst_unused:UNUSED_PAD src0_sel:BYTE_0
	v_pack_b32_f16 v113, v113, v119
	s_waitcnt vmcnt(0)
	v_mul_u32_u24_e32 v0, 0x10001, v0
	v_pk_mul_f16 v124, v118, v0
	v_pk_mul_f16 v0, v113, v0
	v_mul_u32_u24_sdwa v113, v203, v195 dst_sel:DWORD dst_unused:UNUSED_PAD src0_sel:WORD_1 src1_sel:DWORD
	v_pk_fma_f16 v118, v112, v113, v206
	v_pk_fma_f16 v119, v1, v113, v207
	;; [unrolled: 1-line block ×4, first 2 shown]
	v_mul_u32_u24_sdwa v113, v211, v195 dst_sel:DWORD dst_unused:UNUSED_PAD src0_sel:WORD_1 src1_sel:DWORD
	v_pk_fma_f16 v209, v0, v113, v41
	v_ashrrev_i32_e32 v0, 31, v169
	v_pk_fma_f16 v207, v1, v113, v39
	v_add_co_u32 v1, vcc_lo, s3, v169
	v_pk_fma_f16 v206, v112, v113, v38
	v_add_co_ci_u32_e64 v0, null, s11, v0, vcc_lo
	v_add_co_u32 v38, vcc_lo, v1, v197
	v_pk_fma_f16 v208, v124, v113, v40
	v_add_co_ci_u32_e64 v39, null, v0, v196, vcc_lo
	v_add_co_u32 v40, vcc_lo, v38, v190
	v_add_co_ci_u32_e64 v41, null, 0, v39, vcc_lo
	global_load_dword v112, v[40:41], off offset:2
	v_add_co_u32 v40, vcc_lo, v1, v199
	v_add_co_ci_u32_e64 v41, null, v0, v198, vcc_lo
	v_ashrrev_i32_e32 v1, 31, v172
	v_add_co_u32 v202, vcc_lo, v40, v193
	v_add_co_ci_u32_e64 v203, null, 0, v41, vcc_lo
	v_add_co_u32 v113, vcc_lo, s3, v172
	v_add_co_ci_u32_e64 v1, null, s11, v1, vcc_lo
	global_load_dword v0, v[202:203], off offset:2
	v_add_co_u32 v202, vcc_lo, v113, v197
	v_add_co_ci_u32_e64 v203, null, v1, v196, vcc_lo
	v_add_co_u32 v210, vcc_lo, v113, v199
	v_add_co_ci_u32_e64 v211, null, v1, v198, vcc_lo
	;; [unrolled: 2-line block ×3, first 2 shown]
	global_load_ushort v1, v[202:203], off
	v_add_co_u32 v202, vcc_lo, v210, v193
	v_add_co_ci_u32_e64 v203, null, 0, v211, vcc_lo
	s_clause 0x3
	global_load_dword v113, v[202:203], off offset:2
	global_load_dword v124, v[214:215], off offset:2
	global_load_ushort v40, v[40:41], off
	global_load_ushort v38, v[38:39], off
	ds_write_b128 v129, v[118:121]
	ds_write_b128 v129, v[206:209] offset:16
	s_waitcnt vmcnt(6)
	v_pk_lshrrev_b16 v39, 8, v112 op_sel:[1,0] op_sel_hi:[0,0]
	v_lshrrev_b32_e32 v41, 16, v39
	v_cvt_f16_i16_sdwa v39, sext(v39) dst_sel:DWORD dst_unused:UNUSED_PAD src0_sel:BYTE_0
	v_cvt_f16_i16_sdwa v41, sext(v41) dst_sel:DWORD dst_unused:UNUSED_PAD src0_sel:BYTE_0
	v_pack_b32_f16 v39, v39, v41
	v_pk_lshrrev_b16 v41, 8, v112 op_sel:[1,1] op_sel_hi:[0,1]
	v_lshrrev_b32_e32 v112, 16, v41
	v_cvt_f16_i16_sdwa v41, sext(v41) dst_sel:DWORD dst_unused:UNUSED_PAD src0_sel:BYTE_0
	v_cvt_f16_i16_sdwa v112, sext(v112) dst_sel:DWORD dst_unused:UNUSED_PAD src0_sel:BYTE_0
	s_waitcnt vmcnt(4)
	v_mul_u32_u24_e32 v1, 0x10001, v1
	v_pack_b32_f16 v41, v41, v112
	v_pk_lshrrev_b16 v112, 8, v0 op_sel:[1,0] op_sel_hi:[0,0]
	v_pk_lshrrev_b16 v0, 8, v0 op_sel:[1,1] op_sel_hi:[0,1]
	s_waitcnt vmcnt(0)
	v_mul_u32_u24_e32 v38, 0x10001, v38
	v_lshrrev_b32_e32 v125, 16, v112
	v_cvt_f16_i16_sdwa v112, sext(v112) dst_sel:DWORD dst_unused:UNUSED_PAD src0_sel:BYTE_0
	v_pk_mul_f16 v126, v41, v38
	v_mul_u32_u24_sdwa v41, v204, v195 dst_sel:DWORD dst_unused:UNUSED_PAD src0_sel:WORD_0 src1_sel:DWORD
	v_cvt_f16_i16_sdwa v125, sext(v125) dst_sel:DWORD dst_unused:UNUSED_PAD src0_sel:BYTE_0
	v_pack_b32_f16 v112, v112, v125
	v_pk_mul_f16 v125, v39, v38
	v_lshrrev_b32_e32 v38, 16, v0
	v_cvt_f16_i16_sdwa v0, sext(v0) dst_sel:DWORD dst_unused:UNUSED_PAD src0_sel:BYTE_0
	v_pk_fma_f16 v39, v126, v41, v119
	v_cvt_f16_i16_sdwa v38, sext(v38) dst_sel:DWORD dst_unused:UNUSED_PAD src0_sel:BYTE_0
	v_pack_b32_f16 v0, v0, v38
	v_mul_u32_u24_e32 v38, 0x10001, v40
	v_pk_mul_f16 v112, v112, v38
	v_pk_mul_f16 v0, v0, v38
	v_pk_fma_f16 v38, v125, v41, v118
	v_pk_fma_f16 v40, v112, v41, v120
	;; [unrolled: 1-line block ×3, first 2 shown]
	v_mul_u32_u24_sdwa v121, v212, v195 dst_sel:DWORD dst_unused:UNUSED_PAD src0_sel:WORD_0 src1_sel:DWORD
	ds_write_b128 v129, v[38:41]
	v_pk_fma_f16 v118, v125, v121, v206
	v_pk_fma_f16 v119, v126, v121, v207
	;; [unrolled: 1-line block ×4, first 2 shown]
	global_load_ushort v0, v[210:211], off
	v_pk_lshrrev_b16 v112, 8, v124 op_sel:[1,0] op_sel_hi:[0,0]
	v_pk_lshrrev_b16 v124, 8, v124 op_sel:[1,1] op_sel_hi:[0,1]
	v_mul_u32_u24_sdwa v126, v213, v195 dst_sel:DWORD dst_unused:UNUSED_PAD src0_sel:WORD_0 src1_sel:DWORD
	ds_write_b128 v129, v[118:121] offset:16
	v_lshrrev_b32_e32 v125, 16, v112
	v_cvt_f16_i16_sdwa v112, sext(v112) dst_sel:DWORD dst_unused:UNUSED_PAD src0_sel:BYTE_0
	v_cvt_f16_i16_sdwa v125, sext(v125) dst_sel:DWORD dst_unused:UNUSED_PAD src0_sel:BYTE_0
	v_pack_b32_f16 v112, v112, v125
	v_lshrrev_b32_e32 v125, 16, v124
	v_cvt_f16_i16_sdwa v124, sext(v124) dst_sel:DWORD dst_unused:UNUSED_PAD src0_sel:BYTE_0
	v_pk_mul_f16 v112, v112, v1
	v_cvt_f16_i16_sdwa v125, sext(v125) dst_sel:DWORD dst_unused:UNUSED_PAD src0_sel:BYTE_0
	v_pack_b32_f16 v124, v124, v125
	v_pk_mul_f16 v1, v124, v1
	v_pk_lshrrev_b16 v124, 8, v113 op_sel:[1,0] op_sel_hi:[0,0]
	v_pk_lshrrev_b16 v113, 8, v113 op_sel:[1,1] op_sel_hi:[0,1]
	v_lshrrev_b32_e32 v125, 16, v124
	v_cvt_f16_i16_sdwa v124, sext(v124) dst_sel:DWORD dst_unused:UNUSED_PAD src0_sel:BYTE_0
	v_cvt_f16_i16_sdwa v125, sext(v125) dst_sel:DWORD dst_unused:UNUSED_PAD src0_sel:BYTE_0
	v_pack_b32_f16 v124, v124, v125
	v_lshrrev_b32_e32 v125, 16, v113
	v_cvt_f16_i16_sdwa v113, sext(v113) dst_sel:DWORD dst_unused:UNUSED_PAD src0_sel:BYTE_0
	v_cvt_f16_i16_sdwa v125, sext(v125) dst_sel:DWORD dst_unused:UNUSED_PAD src0_sel:BYTE_0
	v_pack_b32_f16 v113, v113, v125
	s_waitcnt vmcnt(0)
	v_mul_u32_u24_e32 v0, 0x10001, v0
	v_pk_mul_f16 v124, v124, v0
	v_pk_mul_f16 v0, v113, v0
	v_mul_u32_u24_sdwa v113, v204, v195 dst_sel:DWORD dst_unused:UNUSED_PAD src0_sel:WORD_1 src1_sel:DWORD
	v_pk_fma_f16 v209, v0, v113, v41
	v_mul_u32_u24_sdwa v41, v212, v195 dst_sel:DWORD dst_unused:UNUSED_PAD src0_sel:WORD_1 src1_sel:DWORD
	v_pk_fma_f16 v206, v112, v113, v38
	v_pk_fma_f16 v207, v1, v113, v39
	;; [unrolled: 1-line block ×7, first 2 shown]
	v_ashrrev_i32_e32 v0, 31, v175
	v_add_co_u32 v1, vcc_lo, s3, v175
	v_add_co_ci_u32_e64 v0, null, s11, v0, vcc_lo
	v_add_co_u32 v118, vcc_lo, v1, v197
	v_add_co_ci_u32_e64 v119, null, v0, v196, vcc_lo
	v_add_co_u32 v120, vcc_lo, v118, v190
	v_add_co_ci_u32_e64 v121, null, 0, v119, vcc_lo
	global_load_dword v112, v[120:121], off offset:2
	v_add_co_u32 v120, vcc_lo, v1, v199
	v_add_co_ci_u32_e64 v121, null, v0, v198, vcc_lo
	v_ashrrev_i32_e32 v0, 31, v176
	v_add_co_u32 v1, vcc_lo, s3, v176
	v_add_co_ci_u32_e64 v0, null, s11, v0, vcc_lo
	v_add_co_u32 v202, vcc_lo, v1, v197
	v_add_co_ci_u32_e64 v203, null, v0, v196, vcc_lo
	v_add_co_u32 v210, vcc_lo, v1, v199
	v_add_co_ci_u32_e64 v211, null, v0, v198, vcc_lo
	v_add_co_u32 v214, vcc_lo, v120, v193
	v_add_co_ci_u32_e64 v215, null, 0, v121, vcc_lo
	global_load_ushort v0, v[120:121], off
	v_add_co_u32 v120, vcc_lo, v210, v193
	v_add_co_ci_u32_e64 v121, null, 0, v211, vcc_lo
	global_load_dword v1, v[120:121], off offset:2
	v_add_co_u32 v120, vcc_lo, v202, v190
	v_add_co_ci_u32_e64 v121, null, 0, v203, vcc_lo
	s_clause 0x2
	global_load_dword v113, v[120:121], off offset:2
	global_load_dword v120, v[214:215], off offset:2
	global_load_ushort v118, v[118:119], off
	ds_write_b128 v129, v[206:209]
	ds_write_b128 v129, v[38:41] offset:16
	s_waitcnt vmcnt(5)
	v_pk_lshrrev_b16 v119, 8, v112 op_sel:[1,0] op_sel_hi:[0,0]
	v_pk_lshrrev_b16 v112, 8, v112 op_sel:[1,1] op_sel_hi:[0,1]
	v_lshrrev_b32_e32 v121, 16, v119
	v_cvt_f16_i16_sdwa v119, sext(v119) dst_sel:DWORD dst_unused:UNUSED_PAD src0_sel:BYTE_0
	v_cvt_f16_i16_sdwa v121, sext(v121) dst_sel:DWORD dst_unused:UNUSED_PAD src0_sel:BYTE_0
	v_pack_b32_f16 v119, v119, v121
	v_lshrrev_b32_e32 v121, 16, v112
	v_cvt_f16_i16_sdwa v112, sext(v112) dst_sel:DWORD dst_unused:UNUSED_PAD src0_sel:BYTE_0
	v_cvt_f16_i16_sdwa v121, sext(v121) dst_sel:DWORD dst_unused:UNUSED_PAD src0_sel:BYTE_0
	s_waitcnt vmcnt(4)
	v_mul_u32_u24_e32 v0, 0x10001, v0
	v_pack_b32_f16 v112, v112, v121
	v_mul_u32_u24_sdwa v121, v205, v195 dst_sel:DWORD dst_unused:UNUSED_PAD src0_sel:WORD_0 src1_sel:DWORD
	s_waitcnt vmcnt(0)
	v_mul_u32_u24_e32 v118, 0x10001, v118
	v_pk_mul_f16 v124, v119, v118
	v_pk_mul_f16 v112, v112, v118
	v_pk_lshrrev_b16 v118, 8, v120 op_sel:[1,0] op_sel_hi:[0,0]
	v_lshrrev_b32_e32 v119, 16, v118
	v_cvt_f16_i16_sdwa v118, sext(v118) dst_sel:DWORD dst_unused:UNUSED_PAD src0_sel:BYTE_0
	v_cvt_f16_i16_sdwa v119, sext(v119) dst_sel:DWORD dst_unused:UNUSED_PAD src0_sel:BYTE_0
	v_pack_b32_f16 v118, v118, v119
	v_pk_lshrrev_b16 v119, 8, v120 op_sel:[1,1] op_sel_hi:[0,1]
	v_pk_mul_f16 v125, v118, v0
	v_lshrrev_b32_e32 v120, 16, v119
	v_cvt_f16_i16_sdwa v119, sext(v119) dst_sel:DWORD dst_unused:UNUSED_PAD src0_sel:BYTE_0
	v_pk_fma_f16 v118, v124, v121, v206
	v_pk_fma_f16 v206, v124, v126, v38
	v_cvt_f16_i16_sdwa v120, sext(v120) dst_sel:DWORD dst_unused:UNUSED_PAD src0_sel:BYTE_0
	v_pack_b32_f16 v119, v119, v120
	v_pk_fma_f16 v120, v125, v121, v208
	v_pk_fma_f16 v208, v125, v126, v40
	v_pk_lshrrev_b16 v40, 8, v113 op_sel:[1,0] op_sel_hi:[0,0]
	v_pk_mul_f16 v0, v119, v0
	v_pk_fma_f16 v119, v112, v121, v207
	v_pk_fma_f16 v207, v112, v126, v39
	s_clause 0x1
	global_load_ushort v38, v[202:203], off
	global_load_ushort v39, v[210:211], off
	v_pk_fma_f16 v121, v0, v121, v209
	v_pk_fma_f16 v209, v0, v126, v41
	v_lshrrev_b32_e32 v41, 16, v40
	v_cvt_f16_i16_sdwa v40, sext(v40) dst_sel:DWORD dst_unused:UNUSED_PAD src0_sel:BYTE_0
	v_mul_u32_u24_sdwa v0, v205, v195 dst_sel:DWORD dst_unused:UNUSED_PAD src0_sel:WORD_1 src1_sel:DWORD
	ds_write_b128 v129, v[118:121]
	ds_write_b128 v129, v[206:209] offset:16
	v_cvt_f16_i16_sdwa v41, sext(v41) dst_sel:DWORD dst_unused:UNUSED_PAD src0_sel:BYTE_0
	v_pack_b32_f16 v40, v40, v41
	v_pk_lshrrev_b16 v41, 8, v113 op_sel:[1,1] op_sel_hi:[0,1]
	v_lshrrev_b32_e32 v112, 16, v41
	v_cvt_f16_i16_sdwa v41, sext(v41) dst_sel:DWORD dst_unused:UNUSED_PAD src0_sel:BYTE_0
	v_cvt_f16_i16_sdwa v112, sext(v112) dst_sel:DWORD dst_unused:UNUSED_PAD src0_sel:BYTE_0
	v_pack_b32_f16 v41, v41, v112
	s_waitcnt vmcnt(1)
	v_mul_u32_u24_e32 v38, 0x10001, v38
	s_waitcnt vmcnt(0)
	v_mul_u32_u24_e32 v39, 0x10001, v39
	v_pk_mul_f16 v112, v40, v38
	v_pk_mul_f16 v113, v41, v38
	v_pk_lshrrev_b16 v38, 8, v1 op_sel:[1,0] op_sel_hi:[0,0]
	v_pk_lshrrev_b16 v1, 8, v1 op_sel:[1,1] op_sel_hi:[0,1]
	v_lshrrev_b32_e32 v40, 16, v38
	v_cvt_f16_i16_sdwa v38, sext(v38) dst_sel:DWORD dst_unused:UNUSED_PAD src0_sel:BYTE_0
	v_cvt_f16_i16_sdwa v40, sext(v40) dst_sel:DWORD dst_unused:UNUSED_PAD src0_sel:BYTE_0
	v_pack_b32_f16 v38, v38, v40
	v_lshrrev_b32_e32 v40, 16, v1
	v_cvt_f16_i16_sdwa v1, sext(v1) dst_sel:DWORD dst_unused:UNUSED_PAD src0_sel:BYTE_0
	v_pk_mul_f16 v124, v38, v39
	v_cvt_f16_i16_sdwa v40, sext(v40) dst_sel:DWORD dst_unused:UNUSED_PAD src0_sel:BYTE_0
	v_pk_fma_f16 v38, v112, v0, v118
	v_pack_b32_f16 v1, v1, v40
	v_pk_fma_f16 v40, v124, v0, v120
	v_pk_mul_f16 v1, v1, v39
	v_pk_fma_f16 v39, v113, v0, v119
	v_pk_fma_f16 v41, v1, v0, v121
	v_mul_u32_u24_sdwa v0, v213, v195 dst_sel:DWORD dst_unused:UNUSED_PAD src0_sel:WORD_1 src1_sel:DWORD
	v_pk_fma_f16 v118, v112, v0, v206
	v_pk_fma_f16 v119, v113, v0, v207
	;; [unrolled: 1-line block ×4, first 2 shown]
	v_ashrrev_i32_e32 v0, 31, v177
	v_add_co_u32 v1, vcc_lo, s3, v177
	v_add_co_ci_u32_e64 v0, null, s11, v0, vcc_lo
	v_add_co_u32 v202, vcc_lo, v1, v197
	v_add_co_ci_u32_e64 v203, null, v0, v196, vcc_lo
	;; [unrolled: 2-line block ×3, first 2 shown]
	global_load_dword v112, v[204:205], off offset:2
	v_add_co_u32 v204, vcc_lo, v1, v199
	v_add_co_ci_u32_e64 v205, null, v0, v198, vcc_lo
	v_ashrrev_i32_e32 v1, 31, v179
	v_add_co_u32 v206, vcc_lo, v204, v193
	v_add_co_ci_u32_e64 v207, null, 0, v205, vcc_lo
	v_add_co_u32 v113, vcc_lo, s3, v179
	v_add_co_ci_u32_e64 v1, null, s11, v1, vcc_lo
	global_load_dword v0, v[206:207], off offset:2
	v_add_co_u32 v206, vcc_lo, v113, v197
	v_add_co_ci_u32_e64 v207, null, v1, v196, vcc_lo
	v_add_co_u32 v208, vcc_lo, v113, v199
	v_add_co_ci_u32_e64 v209, null, v1, v198, vcc_lo
	;; [unrolled: 2-line block ×3, first 2 shown]
	global_load_ushort v1, v[206:207], off
	v_add_co_u32 v206, vcc_lo, v208, v193
	v_add_co_ci_u32_e64 v207, null, 0, v209, vcc_lo
	s_clause 0x3
	global_load_dword v113, v[206:207], off offset:2
	global_load_dword v124, v[210:211], off offset:2
	global_load_ushort v125, v[204:205], off
	global_load_ushort v126, v[202:203], off
	ds_write_b128 v129, v[38:41]
	ds_write_b128 v129, v[118:121] offset:16
	s_waitcnt vmcnt(6)
	v_pk_lshrrev_b16 v130, 8, v112 op_sel:[1,0] op_sel_hi:[0,0]
	v_pk_lshrrev_b16 v112, 8, v112 op_sel:[1,1] op_sel_hi:[0,1]
	v_lshrrev_b32_e32 v147, 16, v130
	v_cvt_f16_i16_sdwa v130, sext(v130) dst_sel:DWORD dst_unused:UNUSED_PAD src0_sel:BYTE_0
	v_cvt_f16_i16_sdwa v147, sext(v147) dst_sel:DWORD dst_unused:UNUSED_PAD src0_sel:BYTE_0
	v_pack_b32_f16 v130, v130, v147
	v_lshrrev_b32_e32 v147, 16, v112
	v_cvt_f16_i16_sdwa v112, sext(v112) dst_sel:DWORD dst_unused:UNUSED_PAD src0_sel:BYTE_0
	v_cvt_f16_i16_sdwa v147, sext(v147) dst_sel:DWORD dst_unused:UNUSED_PAD src0_sel:BYTE_0
	v_pack_b32_f16 v112, v112, v147
	s_waitcnt vmcnt(5)
	v_pk_lshrrev_b16 v147, 8, v0 op_sel:[1,0] op_sel_hi:[0,0]
	v_pk_lshrrev_b16 v0, 8, v0 op_sel:[1,1] op_sel_hi:[0,1]
	s_waitcnt vmcnt(4)
	v_mul_u32_u24_e32 v1, 0x10001, v1
	v_lshrrev_b32_e32 v151, 16, v147
	v_cvt_f16_i16_sdwa v147, sext(v147) dst_sel:DWORD dst_unused:UNUSED_PAD src0_sel:BYTE_0
	s_waitcnt vmcnt(1)
	v_mul_u32_u24_e32 v125, 0x10001, v125
	s_waitcnt vmcnt(0)
	v_mul_u32_u24_e32 v126, 0x10001, v126
	v_cvt_f16_i16_sdwa v151, sext(v151) dst_sel:DWORD dst_unused:UNUSED_PAD src0_sel:BYTE_0
	v_pk_mul_f16 v130, v130, v126
	v_pk_mul_f16 v112, v112, v126
	v_pack_b32_f16 v147, v147, v151
	v_lshrrev_b32_e32 v151, 16, v0
	v_cvt_f16_i16_sdwa v0, sext(v0) dst_sel:DWORD dst_unused:UNUSED_PAD src0_sel:BYTE_0
	v_pk_mul_f16 v126, v147, v125
	v_cvt_f16_i16_sdwa v151, sext(v151) dst_sel:DWORD dst_unused:UNUSED_PAD src0_sel:BYTE_0
	v_pack_b32_f16 v0, v0, v151
	v_pk_mul_f16 v0, v0, v125
	v_mul_u32_u24_sdwa v125, v42, v195 dst_sel:DWORD dst_unused:UNUSED_PAD src0_sel:WORD_0 src1_sel:DWORD
	v_mul_u32_u24_sdwa v42, v42, v195 dst_sel:DWORD dst_unused:UNUSED_PAD src0_sel:WORD_1 src1_sel:DWORD
	v_pk_fma_f16 v205, v0, v125, v41
	s_waitcnt lgkmcnt(17)
	v_mul_u32_u24_sdwa v41, v34, v195 dst_sel:DWORD dst_unused:UNUSED_PAD src0_sel:WORD_0 src1_sel:DWORD
	v_pk_fma_f16 v202, v130, v125, v38
	v_pk_fma_f16 v203, v112, v125, v39
	;; [unrolled: 1-line block ×3, first 2 shown]
	v_mul_u32_u24_sdwa v34, v34, v195 dst_sel:DWORD dst_unused:UNUSED_PAD src0_sel:WORD_1 src1_sel:DWORD
	v_pk_fma_f16 v38, v130, v41, v118
	v_pk_fma_f16 v39, v112, v41, v119
	;; [unrolled: 1-line block ×4, first 2 shown]
	global_load_ushort v0, v[208:209], off
	v_pk_lshrrev_b16 v112, 8, v124 op_sel:[1,0] op_sel_hi:[0,0]
	ds_write_b128 v129, v[202:205]
	ds_write_b128 v129, v[38:41] offset:16
	v_lshrrev_b32_e32 v118, 16, v112
	v_cvt_f16_i16_sdwa v112, sext(v112) dst_sel:DWORD dst_unused:UNUSED_PAD src0_sel:BYTE_0
	v_cvt_f16_i16_sdwa v118, sext(v118) dst_sel:DWORD dst_unused:UNUSED_PAD src0_sel:BYTE_0
	v_pack_b32_f16 v112, v112, v118
	v_pk_lshrrev_b16 v118, 8, v124 op_sel:[1,1] op_sel_hi:[0,1]
	v_pk_mul_f16 v112, v112, v1
	v_lshrrev_b32_e32 v119, 16, v118
	v_cvt_f16_i16_sdwa v118, sext(v118) dst_sel:DWORD dst_unused:UNUSED_PAD src0_sel:BYTE_0
	v_cvt_f16_i16_sdwa v119, sext(v119) dst_sel:DWORD dst_unused:UNUSED_PAD src0_sel:BYTE_0
	v_pack_b32_f16 v118, v118, v119
	v_pk_lshrrev_b16 v119, 8, v113 op_sel:[1,0] op_sel_hi:[0,0]
	v_pk_lshrrev_b16 v113, 8, v113 op_sel:[1,1] op_sel_hi:[0,1]
	v_pk_mul_f16 v1, v118, v1
	v_lshrrev_b32_e32 v120, 16, v119
	v_cvt_f16_i16_sdwa v119, sext(v119) dst_sel:DWORD dst_unused:UNUSED_PAD src0_sel:BYTE_0
	v_pk_fma_f16 v118, v112, v42, v202
	v_pk_fma_f16 v202, v112, v34, v38
	v_cvt_f16_i16_sdwa v120, sext(v120) dst_sel:DWORD dst_unused:UNUSED_PAD src0_sel:BYTE_0
	v_pack_b32_f16 v119, v119, v120
	v_lshrrev_b32_e32 v120, 16, v113
	v_cvt_f16_i16_sdwa v113, sext(v113) dst_sel:DWORD dst_unused:UNUSED_PAD src0_sel:BYTE_0
	v_cvt_f16_i16_sdwa v120, sext(v120) dst_sel:DWORD dst_unused:UNUSED_PAD src0_sel:BYTE_0
	v_pack_b32_f16 v113, v113, v120
	s_waitcnt vmcnt(0)
	v_mul_u32_u24_e32 v0, 0x10001, v0
	v_pk_mul_f16 v124, v119, v0
	v_pk_mul_f16 v0, v113, v0
	v_pk_fma_f16 v119, v1, v42, v203
	v_pk_fma_f16 v203, v1, v34, v39
	v_add_co_u32 v1, vcc_lo, s3, v180
	v_pk_fma_f16 v121, v0, v42, v205
	v_pk_fma_f16 v205, v0, v34, v41
	v_ashrrev_i32_e32 v0, 31, v180
	v_pk_fma_f16 v120, v124, v42, v204
	v_pk_fma_f16 v204, v124, v34, v40
	v_add_co_ci_u32_e64 v0, null, s11, v0, vcc_lo
	v_add_co_u32 v38, vcc_lo, v1, v197
	v_add_co_ci_u32_e64 v39, null, v0, v196, vcc_lo
	v_add_co_u32 v40, vcc_lo, v38, v190
	v_add_co_ci_u32_e64 v41, null, 0, v39, vcc_lo
	global_load_dword v34, v[40:41], off offset:2
	v_add_co_u32 v40, vcc_lo, v1, v199
	v_add_co_ci_u32_e64 v41, null, v0, v198, vcc_lo
	v_ashrrev_i32_e32 v1, 31, v181
	v_add_co_u32 v206, vcc_lo, v40, v193
	v_add_co_ci_u32_e64 v207, null, 0, v41, vcc_lo
	v_add_co_u32 v42, vcc_lo, s3, v181
	v_add_co_ci_u32_e64 v1, null, s11, v1, vcc_lo
	global_load_dword v0, v[206:207], off offset:2
	v_add_co_u32 v206, vcc_lo, v42, v197
	v_add_co_ci_u32_e64 v207, null, v1, v196, vcc_lo
	v_add_co_u32 v208, vcc_lo, v42, v199
	v_add_co_ci_u32_e64 v209, null, v1, v198, vcc_lo
	;; [unrolled: 2-line block ×3, first 2 shown]
	global_load_ushort v1, v[206:207], off
	v_add_co_u32 v206, vcc_lo, v208, v193
	v_add_co_ci_u32_e64 v207, null, 0, v209, vcc_lo
	s_clause 0x3
	global_load_dword v42, v[206:207], off offset:2
	global_load_dword v112, v[210:211], off offset:2
	global_load_ushort v40, v[40:41], off
	global_load_ushort v38, v[38:39], off
	ds_write_b128 v129, v[118:121]
	ds_write_b128 v129, v[202:205] offset:16
	s_waitcnt vmcnt(6)
	v_pk_lshrrev_b16 v39, 8, v34 op_sel:[1,0] op_sel_hi:[0,0]
	v_pk_lshrrev_b16 v34, 8, v34 op_sel:[1,1] op_sel_hi:[0,1]
	v_lshrrev_b32_e32 v41, 16, v39
	v_cvt_f16_i16_sdwa v39, sext(v39) dst_sel:DWORD dst_unused:UNUSED_PAD src0_sel:BYTE_0
	v_cvt_f16_i16_sdwa v41, sext(v41) dst_sel:DWORD dst_unused:UNUSED_PAD src0_sel:BYTE_0
	v_pack_b32_f16 v39, v39, v41
	v_lshrrev_b32_e32 v41, 16, v34
	v_cvt_f16_i16_sdwa v34, sext(v34) dst_sel:DWORD dst_unused:UNUSED_PAD src0_sel:BYTE_0
	v_cvt_f16_i16_sdwa v41, sext(v41) dst_sel:DWORD dst_unused:UNUSED_PAD src0_sel:BYTE_0
	v_pack_b32_f16 v34, v34, v41
	s_waitcnt vmcnt(5)
	v_pk_lshrrev_b16 v41, 8, v0 op_sel:[1,0] op_sel_hi:[0,0]
	v_pk_lshrrev_b16 v0, 8, v0 op_sel:[1,1] op_sel_hi:[0,1]
	s_waitcnt vmcnt(4)
	v_mul_u32_u24_e32 v1, 0x10001, v1
	v_lshrrev_b32_e32 v113, 16, v41
	v_cvt_f16_i16_sdwa v41, sext(v41) dst_sel:DWORD dst_unused:UNUSED_PAD src0_sel:BYTE_0
	s_waitcnt vmcnt(0)
	v_mul_u32_u24_e32 v38, 0x10001, v38
	v_cvt_f16_i16_sdwa v113, sext(v113) dst_sel:DWORD dst_unused:UNUSED_PAD src0_sel:BYTE_0
	v_pk_mul_f16 v34, v34, v38
	v_pack_b32_f16 v41, v41, v113
	v_lshrrev_b32_e32 v113, 16, v0
	v_cvt_f16_i16_sdwa v0, sext(v0) dst_sel:DWORD dst_unused:UNUSED_PAD src0_sel:BYTE_0
	v_cvt_f16_i16_sdwa v113, sext(v113) dst_sel:DWORD dst_unused:UNUSED_PAD src0_sel:BYTE_0
	v_pack_b32_f16 v0, v0, v113
	v_pk_mul_f16 v113, v39, v38
	v_mul_u32_u24_e32 v38, 0x10001, v40
	v_pk_mul_f16 v124, v41, v38
	v_pk_mul_f16 v0, v0, v38
	v_mul_u32_u24_sdwa v41, v43, v195 dst_sel:DWORD dst_unused:UNUSED_PAD src0_sel:WORD_0 src1_sel:DWORD
	v_pk_fma_f16 v38, v113, v41, v118
	v_pk_fma_f16 v39, v34, v41, v119
	v_pk_fma_f16 v40, v124, v41, v120
	v_pk_fma_f16 v41, v0, v41, v121
	v_mul_u32_u24_sdwa v121, v35, v195 dst_sel:DWORD dst_unused:UNUSED_PAD src0_sel:WORD_0 src1_sel:DWORD
	v_mul_u32_u24_sdwa v35, v35, v195 dst_sel:DWORD dst_unused:UNUSED_PAD src0_sel:WORD_1 src1_sel:DWORD
	ds_write_b128 v129, v[38:41]
	v_pk_fma_f16 v118, v113, v121, v202
	v_pk_fma_f16 v119, v34, v121, v203
	;; [unrolled: 1-line block ×4, first 2 shown]
	global_load_ushort v0, v[208:209], off
	v_pk_lshrrev_b16 v34, 8, v112 op_sel:[1,0] op_sel_hi:[0,0]
	v_pk_lshrrev_b16 v112, 8, v112 op_sel:[1,1] op_sel_hi:[0,1]
	ds_write_b128 v129, v[118:121] offset:16
	v_lshrrev_b32_e32 v113, 16, v34
	v_cvt_f16_i16_sdwa v34, sext(v34) dst_sel:DWORD dst_unused:UNUSED_PAD src0_sel:BYTE_0
	v_cvt_f16_i16_sdwa v113, sext(v113) dst_sel:DWORD dst_unused:UNUSED_PAD src0_sel:BYTE_0
	v_pack_b32_f16 v34, v34, v113
	v_lshrrev_b32_e32 v113, 16, v112
	v_cvt_f16_i16_sdwa v112, sext(v112) dst_sel:DWORD dst_unused:UNUSED_PAD src0_sel:BYTE_0
	v_pk_mul_f16 v34, v34, v1
	v_cvt_f16_i16_sdwa v113, sext(v113) dst_sel:DWORD dst_unused:UNUSED_PAD src0_sel:BYTE_0
	v_pack_b32_f16 v112, v112, v113
	v_pk_mul_f16 v1, v112, v1
	v_pk_lshrrev_b16 v112, 8, v42 op_sel:[1,0] op_sel_hi:[0,0]
	v_pk_lshrrev_b16 v42, 8, v42 op_sel:[1,1] op_sel_hi:[0,1]
	v_lshrrev_b32_e32 v113, 16, v112
	v_cvt_f16_i16_sdwa v112, sext(v112) dst_sel:DWORD dst_unused:UNUSED_PAD src0_sel:BYTE_0
	v_cvt_f16_i16_sdwa v113, sext(v113) dst_sel:DWORD dst_unused:UNUSED_PAD src0_sel:BYTE_0
	v_pack_b32_f16 v112, v112, v113
	v_lshrrev_b32_e32 v113, 16, v42
	v_cvt_f16_i16_sdwa v42, sext(v42) dst_sel:DWORD dst_unused:UNUSED_PAD src0_sel:BYTE_0
	v_cvt_f16_i16_sdwa v113, sext(v113) dst_sel:DWORD dst_unused:UNUSED_PAD src0_sel:BYTE_0
	v_pack_b32_f16 v42, v42, v113
	s_waitcnt vmcnt(0)
	v_mul_u32_u24_e32 v0, 0x10001, v0
	v_pk_mul_f16 v112, v112, v0
	v_pk_mul_f16 v0, v42, v0
	v_mul_u32_u24_sdwa v42, v43, v195 dst_sel:DWORD dst_unused:UNUSED_PAD src0_sel:WORD_1 src1_sel:DWORD
	v_pk_fma_f16 v205, v0, v42, v41
	v_pk_fma_f16 v41, v0, v35, v121
	v_ashrrev_i32_e32 v0, 31, v183
	v_pk_fma_f16 v203, v1, v42, v39
	v_pk_fma_f16 v39, v1, v35, v119
	v_add_co_u32 v1, vcc_lo, s3, v183
	v_add_co_ci_u32_e64 v0, null, s11, v0, vcc_lo
	v_pk_fma_f16 v202, v34, v42, v38
	v_pk_fma_f16 v38, v34, v35, v118
	v_add_co_u32 v34, vcc_lo, v1, v197
	v_pk_fma_f16 v204, v112, v42, v40
	v_pk_fma_f16 v40, v112, v35, v120
	v_add_co_ci_u32_e64 v35, null, v0, v196, vcc_lo
	v_add_co_u32 v42, vcc_lo, v34, v190
	v_add_co_ci_u32_e64 v43, null, 0, v35, vcc_lo
	global_load_dword v112, v[42:43], off offset:2
	v_add_co_u32 v42, vcc_lo, v1, v199
	v_add_co_ci_u32_e64 v43, null, v0, v198, vcc_lo
	v_ashrrev_i32_e32 v1, 31, v187
	v_add_co_u32 v118, vcc_lo, v42, v193
	v_add_co_ci_u32_e64 v119, null, 0, v43, vcc_lo
	v_add_co_u32 v113, vcc_lo, s3, v187
	v_add_co_ci_u32_e64 v1, null, s11, v1, vcc_lo
	global_load_dword v0, v[118:119], off offset:2
	v_add_co_u32 v118, vcc_lo, v113, v197
	v_add_co_ci_u32_e64 v119, null, v1, v196, vcc_lo
	v_add_co_u32 v206, vcc_lo, v113, v199
	v_add_co_ci_u32_e64 v207, null, v1, v198, vcc_lo
	;; [unrolled: 2-line block ×3, first 2 shown]
	global_load_ushort v1, v[118:119], off
	v_add_co_u32 v118, vcc_lo, v206, v193
	v_add_co_ci_u32_e64 v119, null, 0, v207, vcc_lo
	s_clause 0x3
	global_load_dword v113, v[118:119], off offset:2
	global_load_dword v124, v[120:121], off offset:2
	global_load_ushort v42, v[42:43], off
	global_load_ushort v34, v[34:35], off
	ds_write_b128 v129, v[202:205]
	ds_write_b128 v129, v[38:41] offset:16
	s_waitcnt vmcnt(6)
	v_pk_lshrrev_b16 v35, 8, v112 op_sel:[1,0] op_sel_hi:[0,0]
	v_lshrrev_b32_e32 v43, 16, v35
	v_cvt_f16_i16_sdwa v35, sext(v35) dst_sel:DWORD dst_unused:UNUSED_PAD src0_sel:BYTE_0
	v_cvt_f16_i16_sdwa v43, sext(v43) dst_sel:DWORD dst_unused:UNUSED_PAD src0_sel:BYTE_0
	v_pack_b32_f16 v35, v35, v43
	v_pk_lshrrev_b16 v43, 8, v112 op_sel:[1,1] op_sel_hi:[0,1]
	v_lshrrev_b32_e32 v112, 16, v43
	v_cvt_f16_i16_sdwa v43, sext(v43) dst_sel:DWORD dst_unused:UNUSED_PAD src0_sel:BYTE_0
	v_cvt_f16_i16_sdwa v112, sext(v112) dst_sel:DWORD dst_unused:UNUSED_PAD src0_sel:BYTE_0
	s_waitcnt vmcnt(4)
	v_mul_u32_u24_e32 v1, 0x10001, v1
	v_pack_b32_f16 v43, v43, v112
	v_pk_lshrrev_b16 v112, 8, v0 op_sel:[1,0] op_sel_hi:[0,0]
	v_pk_lshrrev_b16 v0, 8, v0 op_sel:[1,1] op_sel_hi:[0,1]
	s_waitcnt vmcnt(1)
	v_mul_u32_u24_e32 v42, 0x10001, v42
	s_waitcnt vmcnt(0)
	v_mul_u32_u24_e32 v34, 0x10001, v34
	v_lshrrev_b32_e32 v118, 16, v112
	v_cvt_f16_i16_sdwa v112, sext(v112) dst_sel:DWORD dst_unused:UNUSED_PAD src0_sel:BYTE_0
	v_pk_mul_f16 v35, v35, v34
	v_pk_mul_f16 v34, v43, v34
	v_cvt_f16_i16_sdwa v118, sext(v118) dst_sel:DWORD dst_unused:UNUSED_PAD src0_sel:BYTE_0
	v_pack_b32_f16 v112, v112, v118
	v_lshrrev_b32_e32 v118, 16, v0
	v_cvt_f16_i16_sdwa v0, sext(v0) dst_sel:DWORD dst_unused:UNUSED_PAD src0_sel:BYTE_0
	v_pk_mul_f16 v43, v112, v42
	v_cvt_f16_i16_sdwa v118, sext(v118) dst_sel:DWORD dst_unused:UNUSED_PAD src0_sel:BYTE_0
	v_pack_b32_f16 v0, v0, v118
	v_pk_mul_f16 v0, v0, v42
	v_mul_u32_u24_sdwa v42, v44, v195 dst_sel:DWORD dst_unused:UNUSED_PAD src0_sel:WORD_0 src1_sel:DWORD
	v_pk_fma_f16 v118, v35, v42, v202
	v_pk_fma_f16 v119, v34, v42, v203
	;; [unrolled: 1-line block ×4, first 2 shown]
	v_mul_u32_u24_sdwa v42, v36, v195 dst_sel:DWORD dst_unused:UNUSED_PAD src0_sel:WORD_0 src1_sel:DWORD
	v_mul_u32_u24_sdwa v36, v36, v195 dst_sel:DWORD dst_unused:UNUSED_PAD src0_sel:WORD_1 src1_sel:DWORD
	ds_write_b128 v129, v[118:121]
	v_pk_fma_f16 v205, v0, v42, v41
	global_load_ushort v0, v[206:207], off
	v_pk_fma_f16 v203, v34, v42, v39
	v_pk_lshrrev_b16 v34, 8, v124 op_sel:[1,0] op_sel_hi:[0,0]
	v_pk_fma_f16 v202, v35, v42, v38
	v_pk_fma_f16 v204, v43, v42, v40
	v_mul_u32_u24_sdwa v41, v44, v195 dst_sel:DWORD dst_unused:UNUSED_PAD src0_sel:WORD_1 src1_sel:DWORD
	v_lshrrev_b32_e32 v35, 16, v34
	v_cvt_f16_i16_sdwa v34, sext(v34) dst_sel:DWORD dst_unused:UNUSED_PAD src0_sel:BYTE_0
	ds_write_b128 v129, v[202:205] offset:16
	v_cvt_f16_i16_sdwa v35, sext(v35) dst_sel:DWORD dst_unused:UNUSED_PAD src0_sel:BYTE_0
	v_pack_b32_f16 v34, v34, v35
	v_pk_lshrrev_b16 v35, 8, v124 op_sel:[1,1] op_sel_hi:[0,1]
	v_pk_mul_f16 v34, v34, v1
	v_lshrrev_b32_e32 v38, 16, v35
	v_cvt_f16_i16_sdwa v35, sext(v35) dst_sel:DWORD dst_unused:UNUSED_PAD src0_sel:BYTE_0
	v_cvt_f16_i16_sdwa v38, sext(v38) dst_sel:DWORD dst_unused:UNUSED_PAD src0_sel:BYTE_0
	v_pack_b32_f16 v35, v35, v38
	v_pk_lshrrev_b16 v38, 8, v113 op_sel:[1,0] op_sel_hi:[0,0]
	v_pk_mul_f16 v1, v35, v1
	v_lshrrev_b32_e32 v39, 16, v38
	v_cvt_f16_i16_sdwa v38, sext(v38) dst_sel:DWORD dst_unused:UNUSED_PAD src0_sel:BYTE_0
	v_cvt_f16_i16_sdwa v39, sext(v39) dst_sel:DWORD dst_unused:UNUSED_PAD src0_sel:BYTE_0
	v_pack_b32_f16 v38, v38, v39
	v_pk_lshrrev_b16 v39, 8, v113 op_sel:[1,1] op_sel_hi:[0,1]
	v_lshrrev_b32_e32 v40, 16, v39
	v_cvt_f16_i16_sdwa v39, sext(v39) dst_sel:DWORD dst_unused:UNUSED_PAD src0_sel:BYTE_0
	v_cvt_f16_i16_sdwa v40, sext(v40) dst_sel:DWORD dst_unused:UNUSED_PAD src0_sel:BYTE_0
	v_pack_b32_f16 v39, v39, v40
	s_waitcnt vmcnt(0)
	v_mul_u32_u24_e32 v0, 0x10001, v0
	v_pk_mul_f16 v35, v38, v0
	v_pk_mul_f16 v0, v39, v0
	v_pk_fma_f16 v38, v34, v41, v118
	v_pk_fma_f16 v39, v1, v41, v119
	;; [unrolled: 1-line block ×6, first 2 shown]
	v_ashrrev_i32_e32 v0, 31, v192
	v_add_co_u32 v1, vcc_lo, s3, v192
	v_pk_fma_f16 v118, v34, v36, v202
	v_pk_fma_f16 v120, v35, v36, v204
	v_add_co_ci_u32_e64 v0, null, s11, v0, vcc_lo
	v_add_co_u32 v34, vcc_lo, v1, v197
	v_add_co_ci_u32_e64 v35, null, v0, v196, vcc_lo
	v_add_co_u32 v42, vcc_lo, v1, v199
	v_add_co_ci_u32_e64 v43, null, v0, v198, vcc_lo
	v_ashrrev_i32_e32 v0, 31, v194
	v_add_co_u32 v1, vcc_lo, s3, v194
	s_add_u32 s3, s3, s10
	v_add_co_ci_u32_e64 v0, null, s11, v0, vcc_lo
	v_add_co_u32 v202, vcc_lo, v1, v197
	s_addc_u32 s11, s11, 0
	v_add_co_ci_u32_e64 v203, null, v0, v196, vcc_lo
	v_add_co_u32 v204, vcc_lo, v1, v199
	v_add_co_ci_u32_e64 v205, null, v0, v198, vcc_lo
	v_add_co_u32 v196, vcc_lo, v34, v190
	v_add_co_ci_u32_e64 v197, null, 0, v35, vcc_lo
	global_load_ushort v36, v[202:203], off
	s_lshl_b64 s[18:19], s[8:9], 1
	global_load_dword v0, v[196:197], off offset:2
	v_add_co_u32 v196, vcc_lo, v42, v193
	v_add_co_ci_u32_e64 v197, null, 0, v43, vcc_lo
	s_add_u32 s4, s4, s18
	s_addc_u32 s5, s5, s19
	s_cmp_ge_i32 s2, s39
	global_load_dword v1, v[196:197], off offset:2
	v_add_co_u32 v196, vcc_lo, v202, v190
	v_add_co_ci_u32_e64 v197, null, 0, v203, vcc_lo
	v_add_co_u32 v198, vcc_lo, v204, v193
	v_add_co_ci_u32_e64 v199, null, 0, v205, vcc_lo
	s_clause 0x3
	global_load_dword v44, v[198:199], off offset:2
	global_load_dword v112, v[196:197], off offset:2
	global_load_ushort v42, v[42:43], off
	global_load_ushort v34, v[34:35], off
	ds_write_b128 v129, v[38:41]
	ds_write_b128 v129, v[118:121] offset:16
	s_waitcnt vmcnt(6)
	v_mul_u32_u24_e32 v36, 0x10001, v36
	s_waitcnt vmcnt(5)
	v_pk_lshrrev_b16 v35, 8, v0 op_sel:[1,0] op_sel_hi:[0,0]
	v_pk_lshrrev_b16 v0, 8, v0 op_sel:[1,1] op_sel_hi:[0,1]
	v_lshrrev_b32_e32 v43, 16, v35
	v_cvt_f16_i16_sdwa v35, sext(v35) dst_sel:DWORD dst_unused:UNUSED_PAD src0_sel:BYTE_0
	v_cvt_f16_i16_sdwa v43, sext(v43) dst_sel:DWORD dst_unused:UNUSED_PAD src0_sel:BYTE_0
	v_pack_b32_f16 v35, v35, v43
	v_lshrrev_b32_e32 v43, 16, v0
	v_cvt_f16_i16_sdwa v0, sext(v0) dst_sel:DWORD dst_unused:UNUSED_PAD src0_sel:BYTE_0
	s_waitcnt vmcnt(0)
	v_mul_u32_u24_e32 v34, 0x10001, v34
	v_cvt_f16_i16_sdwa v43, sext(v43) dst_sel:DWORD dst_unused:UNUSED_PAD src0_sel:BYTE_0
	v_pk_mul_f16 v35, v35, v34
	v_pack_b32_f16 v0, v0, v43
	v_pk_lshrrev_b16 v43, 8, v1 op_sel:[1,0] op_sel_hi:[0,0]
	v_pk_lshrrev_b16 v1, 8, v1 op_sel:[1,1] op_sel_hi:[0,1]
	v_pk_mul_f16 v0, v0, v34
	v_lshrrev_b32_e32 v113, 16, v43
	v_lshrrev_b32_e32 v34, 16, v1
	v_cvt_f16_i16_sdwa v43, sext(v43) dst_sel:DWORD dst_unused:UNUSED_PAD src0_sel:BYTE_0
	v_cvt_f16_i16_sdwa v1, sext(v1) dst_sel:DWORD dst_unused:UNUSED_PAD src0_sel:BYTE_0
	;; [unrolled: 1-line block ×4, first 2 shown]
	v_pack_b32_f16 v43, v43, v113
	v_pack_b32_f16 v1, v1, v34
	v_mul_u32_u24_e32 v34, 0x10001, v42
	v_mov_b32_e32 v113, v115
	v_pk_mul_f16 v42, v43, v34
	v_pk_mul_f16 v1, v1, v34
	v_mul_u32_u24_sdwa v34, v45, v195 dst_sel:DWORD dst_unused:UNUSED_PAD src0_sel:WORD_0 src1_sel:DWORD
	v_pk_lshrrev_b16 v43, 8, v44 op_sel:[1,1] op_sel_hi:[0,1]
	v_mul_u32_u24_sdwa v45, v45, v195 dst_sel:DWORD dst_unused:UNUSED_PAD src0_sel:WORD_1 src1_sel:DWORD
	v_pk_fma_f16 v196, v35, v34, v38
	v_pk_fma_f16 v197, v0, v34, v39
	;; [unrolled: 1-line block ×4, first 2 shown]
	global_load_ushort v34, v[204:205], off
	v_mul_u32_u24_sdwa v41, v37, v195 dst_sel:DWORD dst_unused:UNUSED_PAD src0_sel:WORD_0 src1_sel:DWORD
	ds_write_b128 v129, v[196:199]
	v_pk_fma_f16 v39, v0, v41, v119
	v_pk_lshrrev_b16 v0, 8, v112 op_sel:[1,0] op_sel_hi:[0,0]
	v_pk_fma_f16 v38, v35, v41, v118
	v_pk_fma_f16 v40, v42, v41, v120
	;; [unrolled: 1-line block ×3, first 2 shown]
	v_pk_lshrrev_b16 v35, 8, v112 op_sel:[1,1] op_sel_hi:[0,1]
	v_lshrrev_b32_e32 v1, 16, v0
	v_cvt_f16_i16_sdwa v0, sext(v0) dst_sel:DWORD dst_unused:UNUSED_PAD src0_sel:BYTE_0
	v_mov_b32_e32 v112, v114
	ds_write_b128 v129, v[38:41] offset:16
	v_lshrrev_b32_e32 v42, 16, v35
	v_cvt_f16_i16_sdwa v1, sext(v1) dst_sel:DWORD dst_unused:UNUSED_PAD src0_sel:BYTE_0
	v_pack_b32_f16 v0, v0, v1
	v_cvt_f16_i16_sdwa v1, sext(v35) dst_sel:DWORD dst_unused:UNUSED_PAD src0_sel:BYTE_0
	v_cvt_f16_i16_sdwa v35, sext(v42) dst_sel:DWORD dst_unused:UNUSED_PAD src0_sel:BYTE_0
	v_pk_lshrrev_b16 v42, 8, v44 op_sel:[1,0] op_sel_hi:[0,0]
	v_pk_mul_f16 v0, v0, v36
	v_pack_b32_f16 v1, v1, v35
	v_lshrrev_b32_e32 v35, 16, v42
	v_cvt_f16_i16_sdwa v42, sext(v42) dst_sel:DWORD dst_unused:UNUSED_PAD src0_sel:BYTE_0
	v_pk_mul_f16 v1, v1, v36
	v_cvt_f16_i16_sdwa v35, sext(v35) dst_sel:DWORD dst_unused:UNUSED_PAD src0_sel:BYTE_0
	v_mul_u32_u24_sdwa v36, v37, v195 dst_sel:DWORD dst_unused:UNUSED_PAD src0_sel:WORD_1 src1_sel:DWORD
	v_pack_b32_f16 v35, v42, v35
	v_lshrrev_b32_e32 v42, 16, v43
	v_cvt_f16_i16_sdwa v43, sext(v43) dst_sel:DWORD dst_unused:UNUSED_PAD src0_sel:BYTE_0
	v_pk_fma_f16 v118, v0, v36, v38
	v_pk_fma_f16 v119, v1, v36, v39
	v_cvt_f16_i16_sdwa v42, sext(v42) dst_sel:DWORD dst_unused:UNUSED_PAD src0_sel:BYTE_0
	v_pack_b32_f16 v42, v43, v42
	v_pk_fma_f16 v43, v1, v45, v197
	s_waitcnt vmcnt(0)
	v_mul_u32_u24_e32 v34, 0x10001, v34
	v_pk_mul_f16 v35, v35, v34
	v_pk_mul_f16 v34, v42, v34
	v_pk_fma_f16 v42, v0, v45, v196
	v_pk_fma_f16 v44, v35, v45, v198
	;; [unrolled: 1-line block ×5, first 2 shown]
	v_mov_b32_e32 v34, v116
	v_mov_b32_e32 v35, v117
	ds_write_b128 v129, v[42:45]
	ds_write_b128 v129, v[118:121] offset:16
	s_cbranch_scc1 .LBB28_30
.LBB28_22:                              ; =>This Inner Loop Header: Depth=1
	v_ashrrev_i32_e32 v36, 31, v173
	v_add_co_u32 v116, vcc_lo, s14, v173
	v_add_co_ci_u32_e64 v117, null, s15, v36, vcc_lo
	v_add_co_u32 v44, vcc_lo, v116, v131
	s_clause 0x3
	global_load_dwordx2 v[42:43], v[116:117], off
	global_load_dwordx2 v[36:37], v[116:117], off offset:24
	global_load_dwordx2 v[38:39], v[116:117], off offset:48
	;; [unrolled: 1-line block ×3, first 2 shown]
	v_add_co_ci_u32_e64 v45, null, 0, v117, vcc_lo
	v_add_co_u32 v216, vcc_lo, v116, v113
	v_add_co_ci_u32_e64 v217, null, 0, v117, vcc_lo
	v_add_co_u32 v230, vcc_lo, v116, v153
	;; [unrolled: 2-line block ×8, first 2 shown]
	v_add_co_ci_u32_e64 v243, null, 0, v117, vcc_lo
	s_andn2_b32 vcc_lo, exec_lo, s17
	s_waitcnt vmcnt(3)
	v_ashrrev_i32_e32 v196, v131, v43
	v_ashrrev_i32_e32 v211, v148, v43
	;; [unrolled: 1-line block ×4, first 2 shown]
	s_waitcnt vmcnt(2)
	v_ashrrev_i32_e32 v200, v148, v37
	v_lshlrev_b32_e32 v118, 18, v196
	v_ashrrev_i32_e32 v202, v150, v37
	s_waitcnt vmcnt(1)
	v_ashrrev_i32_e32 v204, v131, v39
	v_ashrrev_i32_e32 v208, v148, v39
	;; [unrolled: 1-line block ×3, first 2 shown]
	v_and_b32_e32 v119, 0x100000, v118
	v_lshlrev_b32_e32 v118, 25, v196
	v_ashrrev_i32_e32 v39, v157, v39
	s_waitcnt vmcnt(0)
	v_ashrrev_i32_e32 v222, v131, v41
	v_ashrrev_i32_e32 v225, v148, v41
	;; [unrolled: 1-line block ×3, first 2 shown]
	v_and_b32_e32 v120, 0x10000000, v118
	s_clause 0x4
	global_load_dword v118, v[44:45], off offset:8
	global_load_dword v121, v[44:45], off offset:80
	global_load_dword v122, v[44:45], off offset:56
	global_load_dword v123, v[44:45], off offset:32
	global_load_dword v206, v[44:45], off offset:16
	v_ashrrev_i32_e32 v41, v160, v41
	s_waitcnt vmcnt(4)
	v_and_b32_e32 v197, 0xf0f0f0f, v118
	v_lshrrev_b32_e32 v118, 4, v118
	s_waitcnt vmcnt(0)
	v_and_b32_e32 v206, 0xf0f0f0f, v206
	v_or3_b32 v209, v120, v197, v119
	v_lshlrev_b32_e32 v119, 4, v211
	v_lshlrev_b32_e32 v120, 18, v211
	;; [unrolled: 1-line block ×3, first 2 shown]
	v_and_b32_e32 v118, 0xf0f0f0f, v118
	v_and_b32_e32 v119, 16, v119
	;; [unrolled: 1-line block ×4, first 2 shown]
	v_or3_b32 v212, v120, v197, v119
	v_lshlrev_b32_e32 v119, 18, v213
	v_lshlrev_b32_e32 v120, 25, v213
	v_ashrrev_i32_e32 v197, v131, v37
	v_ashrrev_i32_e32 v37, v154, v37
	v_and_b32_e32 v119, 0x100000, v119
	v_and_b32_e32 v120, 0x10000000, v120
	v_or3_b32 v215, v120, v118, v119
	v_lshlrev_b32_e32 v118, 4, v43
	v_lshlrev_b32_e32 v119, 18, v43
	v_lshlrev_b32_e32 v120, 25, v43
	v_lshlrev_b32_e32 v43, 11, v43
	v_and_b32_e32 v118, 16, v118
	v_and_b32_e32 v119, 0x100000, v119
	v_and_b32_e32 v120, 0x10000000, v120
	v_and_b32_e32 v43, 0x1000, v43
	v_or3_b32 v198, v119, v120, v118
	v_lshlrev_b32_e32 v118, 18, v197
	v_lshlrev_b32_e32 v119, 25, v197
	v_and_b32_e32 v120, 0xf0f0f0f, v123
	v_and_b32_e32 v118, 0x100000, v118
	v_and_b32_e32 v119, 0x10000000, v119
	v_or3_b32 v199, v119, v120, v118
	v_lshlrev_b32_e32 v118, 4, v200
	v_lshlrev_b32_e32 v119, 18, v200
	v_lshlrev_b32_e32 v120, 25, v200
	v_and_b32_e32 v118, 16, v118
	v_and_b32_e32 v119, 0x100000, v119
	v_and_b32_e32 v120, 0x10000000, v120
	v_or3_b32 v201, v119, v120, v118
	v_lshrrev_b32_e32 v118, 4, v123
	v_lshlrev_b32_e32 v119, 18, v202
	v_lshlrev_b32_e32 v120, 25, v202
	v_and_b32_e32 v118, 0xf0f0f0f, v118
	v_and_b32_e32 v119, 0x100000, v119
	v_and_b32_e32 v120, 0x10000000, v120
	v_or3_b32 v203, v120, v118, v119
	v_lshlrev_b32_e32 v118, 4, v37
	v_lshlrev_b32_e32 v119, 18, v37
	v_lshlrev_b32_e32 v120, 25, v37
	v_lshlrev_b32_e32 v37, 11, v37
	v_and_b32_e32 v118, 16, v118
	v_and_b32_e32 v119, 0x100000, v119
	v_and_b32_e32 v120, 0x10000000, v120
	v_and_b32_e32 v37, 0x1000, v37
	v_or3_b32 v205, v119, v120, v118
	v_lshlrev_b32_e32 v118, 18, v204
	v_lshlrev_b32_e32 v119, 25, v204
	v_and_b32_e32 v120, 0xf0f0f0f, v122
	v_and_b32_e32 v118, 0x100000, v118
	v_and_b32_e32 v119, 0x10000000, v119
	v_or3_b32 v207, v119, v120, v118
	v_lshlrev_b32_e32 v118, 4, v208
	v_lshlrev_b32_e32 v119, 18, v208
	v_lshlrev_b32_e32 v120, 25, v208
	v_and_b32_e32 v118, 16, v118
	v_and_b32_e32 v119, 0x100000, v119
	v_and_b32_e32 v120, 0x10000000, v120
	v_or3_b32 v210, v119, v120, v118
	v_lshrrev_b32_e32 v118, 4, v122
	v_lshlrev_b32_e32 v119, 18, v220
	v_lshlrev_b32_e32 v120, 25, v220
	v_and_b32_e32 v118, 0xf0f0f0f, v118
	v_and_b32_e32 v119, 0x100000, v119
	v_and_b32_e32 v120, 0x10000000, v120
	v_or3_b32 v221, v120, v118, v119
	v_lshlrev_b32_e32 v118, 4, v39
	v_lshlrev_b32_e32 v119, 18, v39
	v_lshlrev_b32_e32 v120, 25, v39
	v_lshlrev_b32_e32 v39, 11, v39
	v_and_b32_e32 v118, 16, v118
	v_and_b32_e32 v119, 0x100000, v119
	v_and_b32_e32 v120, 0x10000000, v120
	v_and_b32_e32 v39, 0x1000, v39
	v_or3_b32 v223, v119, v120, v118
	v_lshlrev_b32_e32 v118, 18, v222
	v_lshlrev_b32_e32 v119, 25, v222
	v_and_b32_e32 v120, 0xf0f0f0f, v121
	v_and_b32_e32 v118, 0x100000, v118
	v_and_b32_e32 v119, 0x10000000, v119
	v_or3_b32 v224, v119, v120, v118
	v_lshlrev_b32_e32 v118, 4, v225
	v_lshlrev_b32_e32 v119, 18, v225
	v_lshlrev_b32_e32 v120, 25, v225
	v_and_b32_e32 v118, 16, v118
	v_and_b32_e32 v119, 0x100000, v119
	v_and_b32_e32 v120, 0x10000000, v120
	v_or3_b32 v226, v119, v120, v118
	v_lshrrev_b32_e32 v118, 4, v121
	v_lshlrev_b32_e32 v119, 18, v227
	v_lshlrev_b32_e32 v120, 25, v227
	v_and_b32_e32 v118, 0xf0f0f0f, v118
	v_and_b32_e32 v119, 0x100000, v119
	v_and_b32_e32 v120, 0x10000000, v120
	v_or3_b32 v228, v120, v118, v119
	v_lshlrev_b32_e32 v118, 4, v41
	v_lshlrev_b32_e32 v119, 18, v41
	;; [unrolled: 1-line block ×3, first 2 shown]
	v_and_b32_e32 v118, 16, v118
	v_and_b32_e32 v119, 0x100000, v119
	;; [unrolled: 1-line block ×3, first 2 shown]
	v_or3_b32 v229, v119, v120, v118
	s_clause 0xa
	global_load_dwordx2 v[122:123], v[116:117], off offset:96
	global_load_dwordx2 v[120:121], v[116:117], off offset:120
	;; [unrolled: 1-line block ×4, first 2 shown]
	global_load_dword v219, v[44:45], off offset:104
	global_load_dword v245, v[44:45], off offset:152
	;; [unrolled: 1-line block ×7, first 2 shown]
	s_waitcnt vmcnt(6)
	v_and_b32_e32 v251, 0xf0f0f0f, v219
	v_ashrrev_i32_e32 v244, v131, v123
	v_ashrrev_i32_e32 v252, v148, v123
	v_ashrrev_i32_e32 v254, v150, v123
	v_ashrrev_i32_e32 v123, v162, v123
	v_ashrrev_i32_e32 v124, v131, v121
	v_lshlrev_b32_e32 v214, 18, v244
	v_lshlrev_b32_e32 v218, 25, v244
	;; [unrolled: 1-line block ×3, first 2 shown]
	v_ashrrev_i32_e32 v130, v148, v121
	v_and_b32_e32 v214, 0x100000, v214
	v_and_b32_e32 v218, 0x10000000, v218
	;; [unrolled: 1-line block ×3, first 2 shown]
	v_or3_b32 v251, v218, v251, v214
	v_lshlrev_b32_e32 v214, 4, v252
	v_lshlrev_b32_e32 v218, 18, v252
	v_and_b32_e32 v214, 16, v214
	v_and_b32_e32 v218, 0x100000, v218
	v_or3_b32 v253, v218, v253, v214
	v_lshrrev_b32_e32 v214, 4, v219
	v_lshlrev_b32_e32 v218, 18, v254
	v_lshlrev_b32_e32 v219, 25, v254
	v_and_b32_e32 v214, 0xf0f0f0f, v214
	v_and_b32_e32 v218, 0x100000, v218
	;; [unrolled: 1-line block ×3, first 2 shown]
	v_or3_b32 v255, v219, v214, v218
	v_lshlrev_b32_e32 v214, 4, v123
	v_lshlrev_b32_e32 v218, 18, v123
	v_lshlrev_b32_e32 v219, 25, v123
	v_and_b32_e32 v214, 16, v214
	v_and_b32_e32 v218, 0x100000, v218
	;; [unrolled: 1-line block ×3, first 2 shown]
	v_or3_b32 v125, v218, v219, v214
	v_lshlrev_b32_e32 v214, 18, v124
	v_lshlrev_b32_e32 v218, 25, v124
	s_waitcnt vmcnt(1)
	v_and_b32_e32 v219, 0xf0f0f0f, v249
	v_and_b32_e32 v214, 0x100000, v214
	;; [unrolled: 1-line block ×3, first 2 shown]
	v_or3_b32 v126, v218, v219, v214
	v_lshlrev_b32_e32 v214, 4, v130
	v_lshlrev_b32_e32 v218, 18, v130
	;; [unrolled: 1-line block ×3, first 2 shown]
	v_and_b32_e32 v214, 16, v214
	v_and_b32_e32 v218, 0x100000, v218
	;; [unrolled: 1-line block ×3, first 2 shown]
	v_or3_b32 v151, v218, v219, v214
	v_lshrrev_b32_e32 v214, 4, v249
	v_ashrrev_i32_e32 v249, v150, v121
	v_ashrrev_i32_e32 v121, v165, v121
	v_and_b32_e32 v214, 0xf0f0f0f, v214
	v_lshlrev_b32_e32 v218, 18, v249
	v_lshlrev_b32_e32 v219, 25, v249
	v_and_b32_e32 v218, 0x100000, v218
	v_and_b32_e32 v219, 0x10000000, v219
	v_or3_b32 v1, v219, v214, v218
	v_lshlrev_b32_e32 v214, 4, v121
	v_lshlrev_b32_e32 v218, 18, v121
	;; [unrolled: 1-line block ×3, first 2 shown]
	v_and_b32_e32 v214, 16, v214
	v_and_b32_e32 v218, 0x100000, v218
	;; [unrolled: 1-line block ×3, first 2 shown]
	v_or3_b32 v0, v218, v219, v214
	v_lshlrev_b32_e32 v214, 4, v196
	v_lshlrev_b32_e32 v196, 11, v196
	v_and_b32_e32 v214, 16, v214
	v_and_b32_e32 v196, 0x1000, v196
	v_or3_b32 v218, v209, v214, v196
	v_lshlrev_b32_e32 v196, 11, v211
	v_and_b32_e32 v196, 0x1000, v196
	v_or3_b32 v214, v212, v196, v206
	v_lshlrev_b32_e32 v196, 4, v213
	v_lshlrev_b32_e32 v206, 11, v213
	v_and_b32_e32 v196, 16, v196
	v_and_b32_e32 v206, 0x1000, v206
	v_or3_b32 v213, v215, v196, v206
	s_clause 0x7
	global_load_dword v196, v[216:217], off offset:8
	global_load_dword v206, v[230:231], off offset:32
	;; [unrolled: 1-line block ×8, first 2 shown]
	s_waitcnt vmcnt(7)
	v_lshrrev_b32_e32 v196, 4, v196
	v_and_b32_e32 v196, 0xf0f0f0f, v196
	v_or3_b32 v219, v198, v43, v196
	v_lshlrev_b32_e32 v43, 4, v197
	v_lshlrev_b32_e32 v196, 11, v197
	v_and_b32_e32 v43, 16, v43
	v_and_b32_e32 v196, 0x1000, v196
	v_or3_b32 v215, v199, v43, v196
	global_load_dword v196, v[44:45], off offset:40
	v_lshlrev_b32_e32 v43, 11, v200
	v_and_b32_e32 v43, 0x1000, v43
	s_waitcnt vmcnt(0)
	v_and_b32_e32 v196, 0xf0f0f0f, v196
	v_or3_b32 v217, v201, v43, v196
	v_lshlrev_b32_e32 v43, 4, v202
	v_lshlrev_b32_e32 v196, 11, v202
	v_and_b32_e32 v43, 16, v43
	v_and_b32_e32 v196, 0x1000, v196
	v_or3_b32 v216, v203, v43, v196
	v_lshrrev_b32_e32 v43, 4, v206
	v_mov_b32_e32 v196, 0
	v_and_b32_e32 v43, 0xf0f0f0f, v43
	v_or3_b32 v212, v205, v37, v43
	v_lshlrev_b32_e32 v37, 4, v204
	v_lshlrev_b32_e32 v43, 11, v204
	v_dot4c_i32_i8 v196, v212, v55
	v_and_b32_e32 v37, 16, v37
	v_and_b32_e32 v43, 0x1000, v43
	v_cvt_f32_i32_e32 v196, v196
	v_or3_b32 v209, v207, v37, v43
	global_load_dword v43, v[44:45], off offset:64
	v_lshlrev_b32_e32 v37, 11, v208
	v_and_b32_e32 v37, 0x1000, v37
	s_waitcnt vmcnt(0)
	v_and_b32_e32 v43, 0xf0f0f0f, v43
	v_or3_b32 v210, v210, v37, v43
	v_lshlrev_b32_e32 v37, 4, v220
	v_lshlrev_b32_e32 v43, 11, v220
	v_cvt_f32_f16_e32 v220, v42
	v_cvt_f32_f16_sdwa v42, v42 dst_sel:DWORD dst_unused:UNUSED_PAD src0_sel:WORD_1
	v_and_b32_e32 v37, 16, v37
	v_and_b32_e32 v43, 0x1000, v43
	v_or3_b32 v211, v221, v37, v43
	v_lshrrev_b32_e32 v37, 4, v230
	v_cvt_f32_f16_e32 v221, v36
	v_cvt_f32_f16_sdwa v36, v36 dst_sel:DWORD dst_unused:UNUSED_PAD src0_sel:WORD_1
	v_and_b32_e32 v37, 0xf0f0f0f, v37
	v_mul_f32_e32 v200, v5, v36
	v_or3_b32 v208, v223, v39, v37
	v_lshlrev_b32_e32 v37, 4, v222
	v_lshlrev_b32_e32 v39, 11, v222
	v_mul_f32_e32 v200, 0x3e000000, v200
	v_mul_f32_e32 v222, v4, v221
	v_cvt_f32_f16_sdwa v223, v38 dst_sel:DWORD dst_unused:UNUSED_PAD src0_sel:WORD_1
	v_and_b32_e32 v37, 16, v37
	v_and_b32_e32 v39, 0x1000, v39
	v_or3_b32 v206, v224, v37, v39
	global_load_dword v39, v[44:45], off offset:88
	v_lshlrev_b32_e32 v37, 11, v225
	v_mov_b32_e32 v224, 0
	v_mov_b32_e32 v225, 0
	v_and_b32_e32 v37, 0x1000, v37
	v_dot4c_i32_i8 v224, v211, v58
	v_dot4c_i32_i8 v225, v208, v59
	v_cvt_f32_i32_e32 v224, v224
	v_cvt_f32_i32_e32 v225, v225
	s_waitcnt vmcnt(0)
	v_and_b32_e32 v39, 0xf0f0f0f, v39
	v_or3_b32 v207, v226, v37, v39
	v_lshlrev_b32_e32 v37, 4, v227
	v_lshlrev_b32_e32 v39, 11, v227
	v_mul_f32_e32 v226, v7, v223
	v_mov_b32_e32 v227, 0
	v_and_b32_e32 v37, 16, v37
	v_and_b32_e32 v39, 0x1000, v39
	v_or3_b32 v205, v228, v37, v39
	v_lshrrev_b32_e32 v37, 4, v231
	v_lshlrev_b32_e32 v39, 11, v41
	v_and_b32_e32 v41, 0xf0f0f0f, v245
	v_mul_f32_e32 v228, 0x3e000000, v226
	v_and_b32_e32 v37, 0xf0f0f0f, v37
	v_and_b32_e32 v39, 0x1000, v39
	v_or3_b32 v204, v229, v39, v37
	v_lshlrev_b32_e32 v37, 4, v244
	v_lshlrev_b32_e32 v39, 11, v244
	v_dot4c_i32_i8 v227, v204, v63
	v_and_b32_e32 v37, 16, v37
	v_and_b32_e32 v39, 0x1000, v39
	v_cvt_f32_i32_e32 v227, v227
	v_or3_b32 v201, v251, v37, v39
	v_lshlrev_b32_e32 v37, 11, v252
	v_and_b32_e32 v39, 0xf0f0f0f, v250
	v_mov_b32_e32 v250, 0
	v_and_b32_e32 v37, 0x1000, v37
	v_or3_b32 v202, v253, v37, v39
	v_lshlrev_b32_e32 v37, 4, v254
	v_lshlrev_b32_e32 v39, 11, v254
	v_and_b32_e32 v37, 16, v37
	v_and_b32_e32 v39, 0x1000, v39
	v_or3_b32 v203, v255, v37, v39
	v_lshrrev_b32_e32 v37, 4, v232
	v_lshlrev_b32_e32 v39, 11, v123
	v_and_b32_e32 v123, 0xf0f0f0f, v247
	v_and_b32_e32 v37, 0xf0f0f0f, v37
	;; [unrolled: 1-line block ×3, first 2 shown]
	v_or3_b32 v199, v125, v39, v37
	v_lshlrev_b32_e32 v37, 4, v124
	v_lshlrev_b32_e32 v39, 11, v124
	v_and_b32_e32 v37, 16, v37
	v_and_b32_e32 v39, 0x1000, v39
	v_or3_b32 v197, v126, v37, v39
	global_load_dword v37, v[44:45], off offset:136
	v_lshlrev_b32_e32 v39, 11, v130
	v_mul_f32_e32 v126, v3, v42
	v_mul_f32_e32 v130, v2, v220
	v_and_b32_e32 v39, 0x1000, v39
	v_mul_f32_e32 v126, 0x3e000000, v126
	s_waitcnt vmcnt(0)
	v_and_b32_e32 v37, 0xf0f0f0f, v37
	v_or3_b32 v45, v151, v39, v37
	v_lshlrev_b32_e32 v37, 4, v249
	v_lshlrev_b32_e32 v39, 11, v249
	v_mov_b32_e32 v151, 0
	v_mov_b32_e32 v249, 0
	v_and_b32_e32 v37, 16, v37
	v_and_b32_e32 v39, 0x1000, v39
	v_dot4c_i32_i8 v151, v216, v54
	v_or3_b32 v43, v1, v37, v39
	v_lshrrev_b32_e32 v1, 4, v233
	v_lshlrev_b32_e32 v37, 11, v121
	v_cvt_f32_i32_e32 v151, v151
	v_and_b32_e32 v1, 0xf0f0f0f, v1
	v_and_b32_e32 v37, 0x1000, v37
	v_fma_f32 v151, v222, v151, v200
	v_or3_b32 v37, v0, v37, v1
	v_ashrrev_i32_e32 v0, v131, v119
	v_lshlrev_b32_e32 v1, 18, v0
	v_lshlrev_b32_e32 v39, 25, v0
	v_and_b32_e32 v1, 0x100000, v1
	v_and_b32_e32 v39, 0x10000000, v39
	v_or3_b32 v1, v39, v41, v1
	v_lshlrev_b32_e32 v39, 4, v0
	v_lshlrev_b32_e32 v0, 11, v0
	v_and_b32_e32 v39, 16, v39
	v_and_b32_e32 v0, 0x1000, v0
	v_or3_b32 v39, v1, v39, v0
	v_ashrrev_i32_e32 v0, v148, v119
	v_lshlrev_b32_e32 v1, 4, v0
	v_lshlrev_b32_e32 v41, 18, v0
	;; [unrolled: 1-line block ×4, first 2 shown]
	v_and_b32_e32 v1, 16, v1
	v_and_b32_e32 v41, 0x100000, v41
	;; [unrolled: 1-line block ×4, first 2 shown]
	v_or3_b32 v1, v41, v44, v1
	v_and_b32_e32 v41, 0xf0f0f0f, v246
	v_or3_b32 v41, v1, v0, v41
	v_ashrrev_i32_e32 v1, v150, v119
	v_lshrrev_b32_e32 v0, 4, v245
	v_mov_b32_e32 v245, 0
	v_lshlrev_b32_e32 v44, 18, v1
	v_lshlrev_b32_e32 v121, 25, v1
	v_and_b32_e32 v0, 0xf0f0f0f, v0
	v_and_b32_e32 v44, 0x100000, v44
	v_and_b32_e32 v121, 0x10000000, v121
	v_or3_b32 v0, v121, v0, v44
	v_lshlrev_b32_e32 v44, 4, v1
	v_lshlrev_b32_e32 v1, 11, v1
	v_and_b32_e32 v44, 16, v44
	v_and_b32_e32 v1, 0x1000, v1
	v_or3_b32 v44, v0, v44, v1
	v_ashrrev_i32_e32 v0, v168, v119
	v_lshlrev_b32_e32 v1, 4, v0
	v_lshlrev_b32_e32 v119, 18, v0
	;; [unrolled: 1-line block ×4, first 2 shown]
	v_and_b32_e32 v1, 16, v1
	v_and_b32_e32 v119, 0x100000, v119
	;; [unrolled: 1-line block ×4, first 2 shown]
	v_or3_b32 v1, v119, v121, v1
	v_lshrrev_b32_e32 v119, 4, v234
	v_and_b32_e32 v119, 0xf0f0f0f, v119
	v_or3_b32 v119, v1, v0, v119
	v_ashrrev_i32_e32 v0, v131, v117
	v_dot4c_i32_i8 v245, v119, v75
	v_lshlrev_b32_e32 v1, 18, v0
	v_lshlrev_b32_e32 v121, 25, v0
	v_cvt_f32_i32_e32 v245, v245
	v_and_b32_e32 v1, 0x100000, v1
	v_and_b32_e32 v121, 0x10000000, v121
	v_or3_b32 v1, v121, v123, v1
	v_lshlrev_b32_e32 v121, 4, v0
	v_lshlrev_b32_e32 v0, 11, v0
	v_and_b32_e32 v121, 16, v121
	v_and_b32_e32 v0, 0x1000, v0
	v_or3_b32 v121, v1, v121, v0
	v_ashrrev_i32_e32 v0, v148, v117
	v_lshlrev_b32_e32 v1, 4, v0
	v_lshlrev_b32_e32 v123, 18, v0
	;; [unrolled: 1-line block ×4, first 2 shown]
	v_and_b32_e32 v1, 16, v1
	v_and_b32_e32 v123, 0x100000, v123
	;; [unrolled: 1-line block ×4, first 2 shown]
	v_or3_b32 v1, v123, v124, v1
	v_and_b32_e32 v123, 0xf0f0f0f, v248
	v_or3_b32 v123, v1, v0, v123
	v_ashrrev_i32_e32 v1, v150, v117
	v_lshrrev_b32_e32 v0, 4, v247
	v_lshlrev_b32_e32 v124, 18, v1
	v_lshlrev_b32_e32 v125, 25, v1
	v_and_b32_e32 v0, 0xf0f0f0f, v0
	v_and_b32_e32 v124, 0x100000, v124
	;; [unrolled: 1-line block ×3, first 2 shown]
	v_or3_b32 v0, v125, v0, v124
	v_lshlrev_b32_e32 v124, 4, v1
	v_lshlrev_b32_e32 v1, 11, v1
	v_mov_b32_e32 v125, 0
	v_and_b32_e32 v124, 16, v124
	v_and_b32_e32 v1, 0x1000, v1
	v_dot4c_i32_i8 v125, v219, v51
	v_or3_b32 v198, v0, v124, v1
	v_ashrrev_i32_e32 v0, v171, v117
	v_cvt_f32_i32_e32 v125, v125
	v_dot4c_i32_i8 v249, v198, v78
	v_lshlrev_b32_e32 v1, 4, v0
	v_lshlrev_b32_e32 v117, 18, v0
	;; [unrolled: 1-line block ×4, first 2 shown]
	v_cvt_f32_i32_e32 v249, v249
	v_and_b32_e32 v1, 16, v1
	v_and_b32_e32 v117, 0x100000, v117
	;; [unrolled: 1-line block ×4, first 2 shown]
	v_or3_b32 v1, v117, v124, v1
	v_lshrrev_b32_e32 v117, 4, v235
	v_mov_b32_e32 v124, 0
	v_and_b32_e32 v117, 0xf0f0f0f, v117
	v_dot4c_i32_i8 v124, v213, v50
	v_or3_b32 v117, v1, v0, v117
	v_mov_b32_e32 v0, 0
	v_mov_b32_e32 v1, 0
	v_cvt_f32_i32_e32 v124, v124
	v_dot4c_i32_i8 v250, v117, v79
	v_dot4c_i32_i8 v0, v218, v48
	;; [unrolled: 1-line block ×3, first 2 shown]
	v_fma_f32 v124, v130, v124, v126
	v_cvt_f32_i32_e32 v250, v250
	v_cvt_f32_i32_e32 v0, v0
	v_cvt_f32_i32_e32 v1, v1
	v_fma_f32 v0, v130, v0, v126
	v_fma_f32 v1, v130, v1, v126
	v_fmac_f32_e32 v126, v130, v125
	v_mov_b32_e32 v125, 0
	v_mov_b32_e32 v130, 0
	v_add_f32_e32 v0, 0, v0
	v_dot4c_i32_i8 v125, v215, v52
	v_dot4c_i32_i8 v130, v217, v53
	v_add_f32_e32 v0, v0, v1
	v_cvt_f32_i32_e32 v125, v125
	v_cvt_f32_i32_e32 v130, v130
	v_add_f32_e32 v0, v124, v0
	v_fma_f32 v125, v222, v125, v200
	v_fma_f32 v130, v222, v130, v200
	v_add_f32_e32 v0, v0, v126
	v_fmac_f32_e32 v200, v222, v196
	v_cvt_f32_f16_e32 v222, v38
	v_mov_b32_e32 v38, 0
	v_mov_b32_e32 v196, 0
	v_add_f32_e32 v0, v0, v125
	v_mul_f32_e32 v226, v6, v222
	v_dot4c_i32_i8 v38, v209, v56
	v_dot4c_i32_i8 v196, v210, v57
	v_add_f32_e32 v0, v0, v130
	v_fma_f32 v230, v226, v224, v228
	v_cvt_f32_i32_e32 v38, v38
	v_cvt_f32_i32_e32 v196, v196
	v_add_f32_e32 v0, v151, v0
	v_cvt_f32_f16_e32 v224, v40
	v_fma_f32 v229, v226, v38, v228
	v_fma_f32 v196, v226, v196, v228
	v_add_f32_e32 v0, v0, v200
	v_fmac_f32_e32 v228, v226, v225
	v_cvt_f32_f16_sdwa v225, v40 dst_sel:DWORD dst_unused:UNUSED_PAD src0_sel:WORD_1
	v_mov_b32_e32 v38, 0
	v_mov_b32_e32 v40, 0
	v_add_f32_e32 v0, v0, v229
	v_mov_b32_e32 v226, 0
	v_mul_f32_e32 v231, v9, v225
	v_dot4c_i32_i8 v38, v206, v60
	v_dot4c_i32_i8 v40, v207, v61
	v_add_f32_e32 v0, v0, v196
	v_mul_f32_e32 v232, v8, v224
	v_mul_f32_e32 v231, 0x3e000000, v231
	v_cvt_f32_i32_e32 v38, v38
	v_dot4c_i32_i8 v226, v205, v62
	v_add_f32_e32 v0, v230, v0
	v_cvt_f32_i32_e32 v40, v40
	v_lshlrev_b32_e32 v196, 1, v146
	v_fma_f32 v233, v232, v38, v231
	v_cvt_f32_i32_e32 v226, v226
	v_add_f32_e32 v0, v0, v228
	v_fma_f32 v234, v232, v40, v231
	v_cvt_f32_f16_e32 v38, v122
	v_cvt_f32_f16_sdwa v40, v122 dst_sel:DWORD dst_unused:UNUSED_PAD src0_sel:WORD_1
	v_mov_b32_e32 v122, 0
	v_add_f32_e32 v0, v0, v233
	v_fma_f32 v235, v232, v226, v231
	v_mov_b32_e32 v226, 0
	v_mul_f32_e32 v236, v11, v40
	v_dot4c_i32_i8 v122, v201, v64
	v_add_f32_e32 v0, v0, v234
	v_fmac_f32_e32 v231, v232, v227
	v_dot4c_i32_i8 v226, v202, v65
	v_mov_b32_e32 v227, 0
	v_cvt_f32_i32_e32 v122, v122
	v_mul_f32_e32 v236, 0x3e000000, v236
	v_mul_f32_e32 v237, v10, v38
	v_add_f32_e32 v0, v235, v0
	v_dot4c_i32_i8 v227, v203, v66
	v_mov_b32_e32 v232, 0
	v_cvt_f32_i32_e32 v226, v226
	v_fma_f32 v238, v237, v122, v236
	v_add_f32_e32 v0, v0, v231
	v_cvt_f32_i32_e32 v227, v227
	v_dot4c_i32_i8 v232, v199, v67
	v_fma_f32 v239, v237, v226, v236
	v_cvt_f32_f16_e32 v122, v120
	v_cvt_f32_f16_sdwa v120, v120 dst_sel:DWORD dst_unused:UNUSED_PAD src0_sel:WORD_1
	v_mov_b32_e32 v226, 0
	v_add_f32_e32 v0, v0, v238
	v_cvt_f32_i32_e32 v232, v232
	v_fma_f32 v240, v237, v227, v236
	v_mov_b32_e32 v227, 0
	v_dot4c_i32_i8 v226, v197, v68
	v_mul_f32_e32 v241, v13, v120
	v_add_f32_e32 v0, v0, v239
	v_fmac_f32_e32 v236, v237, v232
	v_dot4c_i32_i8 v227, v45, v69
	v_cvt_f32_i32_e32 v226, v226
	v_mov_b32_e32 v232, 0
	v_mov_b32_e32 v237, 0
	v_mul_f32_e32 v241, 0x3e000000, v241
	v_mul_f32_e32 v242, v12, v122
	v_add_f32_e32 v0, v240, v0
	v_dot4c_i32_i8 v232, v43, v70
	v_dot4c_i32_i8 v237, v37, v71
	v_cvt_f32_i32_e32 v227, v227
	v_fma_f32 v243, v242, v226, v241
	v_add_f32_e32 v0, v0, v236
	v_cvt_f32_i32_e32 v232, v232
	v_cvt_f32_i32_e32 v237, v237
	v_fma_f32 v244, v242, v227, v241
	v_cvt_f32_f16_e32 v226, v118
	v_cvt_f32_f16_sdwa v118, v118 dst_sel:DWORD dst_unused:UNUSED_PAD src0_sel:WORD_1
	v_mov_b32_e32 v227, 0
	v_add_f32_e32 v0, v0, v243
	v_fma_f32 v232, v242, v232, v241
	v_fmac_f32_e32 v241, v242, v237
	v_mov_b32_e32 v237, 0
	v_dot4c_i32_i8 v227, v39, v72
	v_mov_b32_e32 v242, 0
	v_mul_f32_e32 v246, v15, v118
	v_add_f32_e32 v0, v0, v244
	v_dot4c_i32_i8 v237, v41, v73
	v_cvt_f32_i32_e32 v227, v227
	v_dot4c_i32_i8 v242, v44, v74
	v_mul_f32_e32 v246, 0x3e000000, v246
	v_mul_f32_e32 v247, v14, v226
	v_add_f32_e32 v0, v232, v0
	v_cvt_f32_i32_e32 v237, v237
	v_cvt_f32_i32_e32 v242, v242
	v_fma_f32 v248, v247, v227, v246
	v_add_f32_e32 v0, v0, v241
	v_fma_f32 v237, v247, v237, v246
	v_fma_f32 v242, v247, v242, v246
	v_fmac_f32_e32 v246, v247, v245
	v_cvt_f32_f16_e32 v227, v116
	v_cvt_f32_f16_sdwa v116, v116 dst_sel:DWORD dst_unused:UNUSED_PAD src0_sel:WORD_1
	v_mov_b32_e32 v245, 0
	v_add_f32_e32 v0, v0, v248
	v_mov_b32_e32 v247, 0
	v_mul_f32_e32 v252, v16, v227
	v_mul_f32_e32 v251, v17, v116
	v_dot4c_i32_i8 v245, v121, v76
	v_add_f32_e32 v0, v0, v237
	v_dot4c_i32_i8 v247, v123, v77
	v_mul_f32_e32 v251, 0x3e000000, v251
	v_cvt_f32_i32_e32 v245, v245
	v_add_f32_e32 v0, v242, v0
	v_cvt_f32_i32_e32 v247, v247
	v_fma_f32 v249, v252, v249, v251
	v_fma_f32 v245, v252, v245, v251
	v_add_f32_e32 v0, v0, v246
	v_fma_f32 v247, v252, v247, v251
	v_fmac_f32_e32 v251, v252, v250
	v_add_f32_e32 v0, v0, v245
	v_add_f32_e32 v0, v0, v247
	;; [unrolled: 1-line block ×4, first 2 shown]
	ds_bpermute_b32 v1, v174, v0
	s_waitcnt lgkmcnt(0)
	v_add_f32_e32 v200, v0, v1
	s_cbranch_vccnz .LBB28_24
; %bb.23:                               ;   in Loop: Header=BB28_22 Depth=1
	global_load_ushort v0, v196, s[4:5]
	s_waitcnt vmcnt(0)
	v_fma_mix_f32 v200, v127, v0, v200 op_sel_hi:[0,1,0]
.LBB28_24:                              ;   in Loop: Header=BB28_22 Depth=1
	v_mov_b32_e32 v0, 0
	v_mov_b32_e32 v1, 0
	;; [unrolled: 1-line block ×4, first 2 shown]
	v_mul_f32_e32 v42, v19, v42
	v_dot4c_i32_i8 v0, v218, v80
	v_dot4c_i32_i8 v1, v214, v81
	;; [unrolled: 1-line block ×4, first 2 shown]
	v_mul_f32_e32 v126, v18, v220
	v_mul_f32_e32 v42, 0x3e000000, v42
	v_cvt_f32_i32_e32 v0, v0
	v_cvt_f32_i32_e32 v1, v1
	;; [unrolled: 1-line block ×4, first 2 shown]
	v_mov_b32_e32 v130, 0
	v_fma_f32 v0, v126, v0, v42
	v_fma_f32 v1, v126, v1, v42
	;; [unrolled: 1-line block ×3, first 2 shown]
	v_fmac_f32_e32 v42, v126, v125
	v_mov_b32_e32 v125, 0
	v_mov_b32_e32 v126, 0
	;; [unrolled: 1-line block ×3, first 2 shown]
	v_dot4c_i32_i8 v130, v216, v86
	v_mul_f32_e32 v36, v21, v36
	v_dot4c_i32_i8 v125, v215, v84
	v_dot4c_i32_i8 v126, v217, v85
	;; [unrolled: 1-line block ×3, first 2 shown]
	v_mul_f32_e32 v212, v20, v221
	v_mul_f32_e32 v36, 0x3e000000, v36
	v_cvt_f32_i32_e32 v125, v125
	v_cvt_f32_i32_e32 v126, v126
	;; [unrolled: 1-line block ×4, first 2 shown]
	v_add_f32_e32 v0, 0, v0
	v_fma_f32 v125, v212, v125, v36
	v_fma_f32 v126, v212, v126, v36
	;; [unrolled: 1-line block ×3, first 2 shown]
	v_fmac_f32_e32 v36, v212, v151
	v_mov_b32_e32 v151, 0
	v_add_f32_e32 v0, v0, v1
	v_mul_f32_e32 v212, v22, v222
	v_mov_b32_e32 v1, 0
	v_mul_f32_e32 v40, v27, v40
	v_dot4c_i32_i8 v151, v209, v88
	v_mov_b32_e32 v209, 0
	v_add_f32_e32 v0, v124, v0
	v_dot4c_i32_i8 v1, v201, v96
	v_mul_f32_e32 v38, v26, v38
	v_cvt_f32_i32_e32 v151, v151
	v_dot4c_i32_i8 v209, v210, v89
	v_mov_b32_e32 v210, 0
	v_add_f32_e32 v0, v0, v42
	v_mov_b32_e32 v42, 0
	v_cvt_f32_i32_e32 v1, v1
	v_cvt_f32_i32_e32 v209, v209
	v_dot4c_i32_i8 v210, v211, v90
	v_mov_b32_e32 v211, 0
	v_add_f32_e32 v0, v0, v125
	v_mul_f32_e32 v40, 0x3e000000, v40
	v_mov_b32_e32 v124, 0
	v_cvt_f32_i32_e32 v210, v210
	v_dot4c_i32_i8 v211, v208, v91
	v_mul_f32_e32 v208, v23, v223
	v_add_f32_e32 v0, v0, v126
	v_dot4c_i32_i8 v42, v203, v98
	v_fma_f32 v1, v38, v1, v40
	v_cvt_f32_i32_e32 v211, v211
	v_mul_f32_e32 v208, 0x3e000000, v208
	v_add_f32_e32 v0, v130, v0
	v_dot4c_i32_i8 v124, v199, v99
	v_cvt_f32_i32_e32 v42, v42
	s_andn2_b32 vcc_lo, exec_lo, s12
	v_fma_f32 v151, v212, v151, v208
	v_fma_f32 v209, v212, v209, v208
	;; [unrolled: 1-line block ×3, first 2 shown]
	v_fmac_f32_e32 v208, v212, v211
	v_mov_b32_e32 v211, 0
	v_add_f32_e32 v0, v0, v36
	v_mul_f32_e32 v212, v24, v224
	v_mov_b32_e32 v36, 0
	v_fma_f32 v42, v38, v42, v40
	v_dot4c_i32_i8 v211, v206, v92
	v_mov_b32_e32 v206, 0
	v_add_f32_e32 v0, v0, v151
	v_dot4c_i32_i8 v36, v202, v97
	v_cvt_f32_i32_e32 v211, v211
	v_dot4c_i32_i8 v206, v207, v93
	v_mov_b32_e32 v207, 0
	v_add_f32_e32 v0, v0, v209
	v_cvt_f32_i32_e32 v36, v36
	v_cvt_f32_i32_e32 v206, v206
	v_dot4c_i32_i8 v207, v205, v94
	v_mov_b32_e32 v205, 0
	v_add_f32_e32 v0, v210, v0
	v_fma_f32 v36, v38, v36, v40
	v_cvt_f32_i32_e32 v207, v207
	v_dot4c_i32_i8 v205, v204, v95
	v_mul_f32_e32 v204, v25, v225
	v_add_f32_e32 v0, v0, v208
	v_cvt_f32_i32_e32 v205, v205
	v_mul_f32_e32 v204, 0x3e000000, v204
	v_fma_f32 v211, v212, v211, v204
	v_fma_f32 v206, v212, v206, v204
	;; [unrolled: 1-line block ×3, first 2 shown]
	v_fmac_f32_e32 v204, v212, v205
	v_add_f32_e32 v0, v0, v211
	v_add_f32_e32 v0, v0, v206
	;; [unrolled: 1-line block ×5, first 2 shown]
	v_cvt_f32_i32_e32 v1, v124
	v_mov_b32_e32 v124, 0
	v_add_f32_e32 v0, v0, v36
	v_fmac_f32_e32 v40, v38, v1
	v_dot4c_i32_i8 v124, v197, v100
	v_mul_f32_e32 v1, v29, v120
	v_mov_b32_e32 v36, 0
	v_add_f32_e32 v0, v42, v0
	v_mul_f32_e32 v38, v28, v122
	v_cvt_f32_i32_e32 v42, v124
	v_mul_f32_e32 v1, 0x3e000000, v1
	v_dot4c_i32_i8 v36, v45, v101
	v_mov_b32_e32 v45, 0
	v_add_f32_e32 v0, v0, v40
	v_fma_f32 v40, v38, v42, v1
	v_cvt_f32_i32_e32 v36, v36
	v_dot4c_i32_i8 v45, v43, v102
	v_add_f32_e32 v0, v0, v40
	v_fma_f32 v36, v38, v36, v1
	v_mov_b32_e32 v40, 0
	v_cvt_f32_i32_e32 v42, v45
	v_add_f32_e32 v0, v0, v36
	v_dot4c_i32_i8 v40, v37, v103
	v_fma_f32 v36, v38, v42, v1
	v_mov_b32_e32 v37, 0
	v_cvt_f32_i32_e32 v40, v40
	v_add_f32_e32 v0, v36, v0
	v_dot4c_i32_i8 v37, v39, v104
	v_mul_f32_e32 v36, v31, v118
	v_mov_b32_e32 v39, 0
	v_fmac_f32_e32 v1, v38, v40
	v_mul_f32_e32 v38, v30, v226
	v_cvt_f32_i32_e32 v37, v37
	v_mul_f32_e32 v36, 0x3e000000, v36
	v_dot4c_i32_i8 v39, v41, v105
	v_mov_b32_e32 v40, 0
	v_add_f32_e32 v0, v0, v1
	v_fma_f32 v1, v38, v37, v36
	v_cvt_f32_i32_e32 v37, v39
	v_dot4c_i32_i8 v40, v44, v106
	v_add_f32_e32 v0, v0, v1
	v_fma_f32 v1, v38, v37, v36
	v_mov_b32_e32 v37, 0
	v_cvt_f32_i32_e32 v39, v40
	v_mov_b32_e32 v40, 0
	v_add_f32_e32 v0, v0, v1
	v_dot4c_i32_i8 v37, v119, v107
	v_fma_f32 v1, v38, v39, v36
	v_mov_b32_e32 v39, 0
	v_dot4c_i32_i8 v40, v123, v109
	v_cvt_f32_i32_e32 v37, v37
	v_add_f32_e32 v0, v1, v0
	v_dot4c_i32_i8 v39, v121, v108
	v_mul_f32_e32 v1, v33, v116
	v_fmac_f32_e32 v36, v38, v37
	v_mul_f32_e32 v37, v32, v227
	v_cvt_f32_i32_e32 v38, v39
	v_mul_f32_e32 v1, 0x3e000000, v1
	v_mov_b32_e32 v39, 0
	v_add_f32_e32 v0, v0, v36
	v_fma_f32 v36, v37, v38, v1
	v_cvt_f32_i32_e32 v38, v40
	v_dot4c_i32_i8 v39, v198, v110
	v_mov_b32_e32 v40, 0
	v_add_f32_e32 v0, v0, v36
	v_fma_f32 v36, v37, v38, v1
	v_cvt_f32_i32_e32 v38, v39
	v_dot4c_i32_i8 v40, v117, v111
	v_add_f32_e32 v0, v0, v36
	v_fma_f32 v36, v37, v38, v1
	v_cvt_f32_i32_e32 v38, v40
	v_add_f32_e32 v0, v36, v0
	v_fmac_f32_e32 v1, v37, v38
	v_add_f32_e32 v0, v0, v1
	ds_bpermute_b32 v1, v174, v0
	s_waitcnt lgkmcnt(0)
	v_add_f32_e32 v201, v0, v1
	s_cbranch_vccnz .LBB28_26
; %bb.25:                               ;   in Loop: Header=BB28_22 Depth=1
	s_clause 0x1
	buffer_load_dword v0, off, s[52:55], 0 offset:4
	buffer_load_dword v1, off, s[52:55], 0 offset:8
	s_waitcnt vmcnt(1)
	v_add_co_u32 v36, vcc_lo, s4, v0
	s_waitcnt vmcnt(0)
	v_add_co_ci_u32_e64 v37, null, s5, v1, vcc_lo
	global_load_ushort v0, v[36:37], off
	s_waitcnt vmcnt(0)
	v_fma_mix_f32 v201, v127, v0, v201 op_sel_hi:[0,1,0]
.LBB28_26:                              ;   in Loop: Header=BB28_22 Depth=1
	v_ashrrev_i32_e32 v0, 31, v178
	v_add_co_u32 v116, vcc_lo, s14, v178
	v_mov_b32_e32 v115, v113
	v_mov_b32_e32 v114, v112
	v_add_co_ci_u32_e64 v117, null, s15, v0, vcc_lo
	v_add_co_u32 v44, vcc_lo, v116, v131
	global_load_dwordx2 v[42:43], v[116:117], off
	v_add_co_ci_u32_e64 v45, null, 0, v117, vcc_lo
	s_clause 0x2
	global_load_dwordx2 v[36:37], v[116:117], off offset:24
	global_load_dwordx2 v[38:39], v[116:117], off offset:48
	;; [unrolled: 1-line block ×3, first 2 shown]
	v_add_co_u32 v231, vcc_lo, v116, v113
	v_add_co_ci_u32_e64 v232, null, 0, v117, vcc_lo
	v_add_co_u32 v233, vcc_lo, v116, v153
	v_add_co_ci_u32_e64 v234, null, 0, v117, vcc_lo
	;; [unrolled: 2-line block ×8, first 2 shown]
	s_andn2_b32 vcc_lo, exec_lo, s17
	s_waitcnt vmcnt(3)
	v_ashrrev_i32_e32 v197, v131, v43
	v_ashrrev_i32_e32 v214, v148, v43
	;; [unrolled: 1-line block ×4, first 2 shown]
	s_waitcnt vmcnt(2)
	v_ashrrev_i32_e32 v198, v131, v37
	v_lshlrev_b32_e32 v0, 18, v197
	v_ashrrev_i32_e32 v203, v148, v37
	v_ashrrev_i32_e32 v205, v150, v37
	;; [unrolled: 1-line block ×3, first 2 shown]
	s_waitcnt vmcnt(1)
	v_ashrrev_i32_e32 v207, v131, v39
	v_and_b32_e32 v119, 0x100000, v0
	v_lshlrev_b32_e32 v0, 25, v197
	v_ashrrev_i32_e32 v211, v148, v39
	v_ashrrev_i32_e32 v221, v150, v39
	;; [unrolled: 1-line block ×3, first 2 shown]
	s_waitcnt vmcnt(0)
	v_ashrrev_i32_e32 v223, v131, v41
	v_and_b32_e32 v120, 0x10000000, v0
	s_clause 0x4
	global_load_dword v118, v[44:45], off offset:8
	global_load_dword v0, v[44:45], off offset:80
	;; [unrolled: 1-line block ×5, first 2 shown]
	v_ashrrev_i32_e32 v226, v148, v41
	v_ashrrev_i32_e32 v228, v150, v41
	;; [unrolled: 1-line block ×3, first 2 shown]
	v_lshlrev_b32_e32 v113, 4, v197
	v_lshlrev_b32_e32 v197, 11, v197
	v_and_b32_e32 v113, 16, v113
	v_and_b32_e32 v197, 0x1000, v197
	s_waitcnt vmcnt(4)
	v_and_b32_e32 v122, 0xf0f0f0f, v118
	v_lshrrev_b32_e32 v118, 4, v118
	v_or3_b32 v213, v120, v122, v119
	v_lshlrev_b32_e32 v119, 4, v214
	v_lshlrev_b32_e32 v120, 18, v214
	v_lshlrev_b32_e32 v122, 25, v214
	v_and_b32_e32 v118, 0xf0f0f0f, v118
	v_and_b32_e32 v119, 16, v119
	;; [unrolled: 1-line block ×4, first 2 shown]
	v_or3_b32 v215, v120, v122, v119
	v_lshlrev_b32_e32 v119, 18, v216
	v_lshlrev_b32_e32 v120, 25, v216
	v_and_b32_e32 v119, 0x100000, v119
	v_and_b32_e32 v120, 0x10000000, v120
	v_or3_b32 v217, v120, v118, v119
	v_lshlrev_b32_e32 v118, 4, v43
	v_lshlrev_b32_e32 v119, 18, v43
	;; [unrolled: 1-line block ×4, first 2 shown]
	v_and_b32_e32 v118, 16, v118
	v_and_b32_e32 v119, 0x100000, v119
	;; [unrolled: 1-line block ×4, first 2 shown]
	v_or3_b32 v199, v119, v120, v118
	v_lshlrev_b32_e32 v118, 18, v198
	v_lshlrev_b32_e32 v119, 25, v198
	s_waitcnt vmcnt(1)
	v_and_b32_e32 v120, 0xf0f0f0f, v121
	v_and_b32_e32 v118, 0x100000, v118
	;; [unrolled: 1-line block ×3, first 2 shown]
	v_or3_b32 v202, v119, v120, v118
	v_lshlrev_b32_e32 v118, 4, v203
	v_lshlrev_b32_e32 v119, 18, v203
	;; [unrolled: 1-line block ×3, first 2 shown]
	v_and_b32_e32 v118, 16, v118
	v_and_b32_e32 v119, 0x100000, v119
	v_and_b32_e32 v120, 0x10000000, v120
	v_or3_b32 v204, v119, v120, v118
	v_lshrrev_b32_e32 v118, 4, v121
	v_lshlrev_b32_e32 v119, 18, v205
	v_lshlrev_b32_e32 v120, 25, v205
	v_and_b32_e32 v118, 0xf0f0f0f, v118
	v_and_b32_e32 v119, 0x100000, v119
	;; [unrolled: 1-line block ×3, first 2 shown]
	v_or3_b32 v206, v120, v118, v119
	v_lshlrev_b32_e32 v118, 4, v37
	v_lshlrev_b32_e32 v119, 18, v37
	;; [unrolled: 1-line block ×4, first 2 shown]
	v_and_b32_e32 v118, 16, v118
	v_and_b32_e32 v119, 0x100000, v119
	;; [unrolled: 1-line block ×4, first 2 shown]
	v_or3_b32 v208, v119, v120, v118
	v_lshlrev_b32_e32 v118, 18, v207
	v_lshlrev_b32_e32 v119, 25, v207
	v_and_b32_e32 v120, 0xf0f0f0f, v1
	v_lshrrev_b32_e32 v1, 4, v1
	v_and_b32_e32 v118, 0x100000, v118
	v_and_b32_e32 v119, 0x10000000, v119
	;; [unrolled: 1-line block ×3, first 2 shown]
	v_or3_b32 v210, v119, v120, v118
	v_lshlrev_b32_e32 v118, 4, v211
	v_lshlrev_b32_e32 v119, 18, v211
	;; [unrolled: 1-line block ×3, first 2 shown]
	v_and_b32_e32 v118, 16, v118
	v_and_b32_e32 v119, 0x100000, v119
	;; [unrolled: 1-line block ×3, first 2 shown]
	v_or3_b32 v212, v119, v120, v118
	v_lshlrev_b32_e32 v118, 18, v221
	v_lshlrev_b32_e32 v119, 25, v221
	v_and_b32_e32 v118, 0x100000, v118
	v_and_b32_e32 v119, 0x10000000, v119
	v_or3_b32 v222, v119, v1, v118
	v_lshlrev_b32_e32 v1, 4, v39
	v_lshlrev_b32_e32 v118, 18, v39
	;; [unrolled: 1-line block ×4, first 2 shown]
	v_and_b32_e32 v1, 16, v1
	v_and_b32_e32 v118, 0x100000, v118
	v_and_b32_e32 v119, 0x10000000, v119
	v_and_b32_e32 v39, 0x1000, v39
	v_or3_b32 v224, v118, v119, v1
	v_lshlrev_b32_e32 v1, 18, v223
	v_lshlrev_b32_e32 v118, 25, v223
	v_and_b32_e32 v119, 0xf0f0f0f, v0
	v_lshrrev_b32_e32 v0, 4, v0
	v_and_b32_e32 v1, 0x100000, v1
	v_and_b32_e32 v118, 0x10000000, v118
	;; [unrolled: 1-line block ×3, first 2 shown]
	v_or3_b32 v225, v118, v119, v1
	v_lshlrev_b32_e32 v1, 4, v226
	v_lshlrev_b32_e32 v118, 18, v226
	;; [unrolled: 1-line block ×3, first 2 shown]
	v_and_b32_e32 v1, 16, v1
	v_and_b32_e32 v118, 0x100000, v118
	;; [unrolled: 1-line block ×3, first 2 shown]
	v_or3_b32 v227, v118, v119, v1
	v_lshlrev_b32_e32 v1, 18, v228
	v_lshlrev_b32_e32 v118, 25, v228
	v_and_b32_e32 v1, 0x100000, v1
	v_and_b32_e32 v118, 0x10000000, v118
	v_or3_b32 v229, v118, v0, v1
	v_lshlrev_b32_e32 v0, 4, v41
	v_lshlrev_b32_e32 v1, 18, v41
	;; [unrolled: 1-line block ×3, first 2 shown]
	v_and_b32_e32 v0, 16, v0
	v_and_b32_e32 v1, 0x100000, v1
	;; [unrolled: 1-line block ×3, first 2 shown]
	v_or3_b32 v230, v1, v118, v0
	s_clause 0xa
	global_load_dwordx2 v[122:123], v[116:117], off offset:96
	global_load_dwordx2 v[120:121], v[116:117], off offset:120
	;; [unrolled: 1-line block ×4, first 2 shown]
	global_load_dword v125, v[44:45], off offset:104
	global_load_dword v126, v[44:45], off offset:152
	;; [unrolled: 1-line block ×7, first 2 shown]
	s_waitcnt vmcnt(6)
	v_and_b32_e32 v219, 0xf0f0f0f, v125
	v_lshrrev_b32_e32 v125, 4, v125
	v_ashrrev_i32_e32 v0, v131, v123
	v_ashrrev_i32_e32 v250, v150, v123
	v_ashrrev_i32_e32 v252, v131, v121
	s_waitcnt vmcnt(1)
	v_and_b32_e32 v253, 0xf0f0f0f, v218
	v_and_b32_e32 v125, 0xf0f0f0f, v125
	v_lshlrev_b32_e32 v1, 18, v0
	v_lshlrev_b32_e32 v124, 25, v0
	v_ashrrev_i32_e32 v254, v148, v121
	v_ashrrev_i32_e32 v189, v150, v121
	v_lshrrev_b32_e32 v218, 4, v218
	v_and_b32_e32 v1, 0x100000, v1
	v_and_b32_e32 v124, 0x10000000, v124
	v_lshlrev_b32_e32 v255, 25, v254
	v_ashrrev_i32_e32 v121, v165, v121
	v_and_b32_e32 v218, 0xf0f0f0f, v218
	v_or3_b32 v1, v124, v219, v1
	v_ashrrev_i32_e32 v124, v148, v123
	v_ashrrev_i32_e32 v123, v162, v123
	v_and_b32_e32 v255, 0x10000000, v255
	v_lshlrev_b32_e32 v219, 4, v124
	v_lshlrev_b32_e32 v220, 18, v124
	;; [unrolled: 1-line block ×4, first 2 shown]
	v_and_b32_e32 v219, 16, v219
	v_and_b32_e32 v220, 0x100000, v220
	;; [unrolled: 1-line block ×4, first 2 shown]
	v_or3_b32 v249, v220, v249, v219
	v_lshlrev_b32_e32 v219, 18, v250
	v_lshlrev_b32_e32 v220, 25, v250
	v_and_b32_e32 v219, 0x100000, v219
	v_and_b32_e32 v220, 0x10000000, v220
	v_or3_b32 v125, v220, v125, v219
	v_lshlrev_b32_e32 v219, 4, v123
	v_lshlrev_b32_e32 v220, 18, v123
	v_and_b32_e32 v219, 16, v219
	v_and_b32_e32 v220, 0x100000, v220
	;; [unrolled: 5-line block ×5, first 2 shown]
	v_or3_b32 v147, v220, v218, v219
	v_lshlrev_b32_e32 v218, 4, v121
	v_lshlrev_b32_e32 v219, 18, v121
	;; [unrolled: 1-line block ×3, first 2 shown]
	v_and_b32_e32 v218, 16, v218
	v_and_b32_e32 v219, 0x100000, v219
	;; [unrolled: 1-line block ×3, first 2 shown]
	v_or3_b32 v112, v219, v220, v218
	v_or3_b32 v219, v213, v113, v197
	v_lshlrev_b32_e32 v113, 11, v214
	v_and_b32_e32 v197, 0xf0f0f0f, v209
	v_and_b32_e32 v113, 0x1000, v113
	v_or3_b32 v215, v215, v113, v197
	v_lshlrev_b32_e32 v113, 4, v216
	v_lshlrev_b32_e32 v197, 11, v216
	v_and_b32_e32 v113, 16, v113
	v_and_b32_e32 v197, 0x1000, v197
	v_or3_b32 v214, v217, v113, v197
	s_clause 0x7
	global_load_dword v113, v[231:232], off offset:8
	global_load_dword v197, v[233:234], off offset:32
	;; [unrolled: 1-line block ×8, first 2 shown]
	v_mov_b32_e32 v244, 0
	s_waitcnt vmcnt(7)
	v_lshrrev_b32_e32 v113, 4, v113
	v_and_b32_e32 v113, 0xf0f0f0f, v113
	v_or3_b32 v220, v199, v43, v113
	v_lshlrev_b32_e32 v43, 4, v198
	v_lshlrev_b32_e32 v113, 11, v198
	v_and_b32_e32 v43, 16, v43
	v_and_b32_e32 v113, 0x1000, v113
	v_or3_b32 v216, v202, v43, v113
	global_load_dword v113, v[44:45], off offset:40
	v_lshlrev_b32_e32 v43, 11, v203
	v_and_b32_e32 v43, 0x1000, v43
	s_waitcnt vmcnt(0)
	v_and_b32_e32 v113, 0xf0f0f0f, v113
	v_or3_b32 v218, v204, v43, v113
	v_lshlrev_b32_e32 v43, 4, v205
	v_lshlrev_b32_e32 v113, 11, v205
	v_and_b32_e32 v43, 16, v43
	v_and_b32_e32 v113, 0x1000, v113
	v_or3_b32 v217, v206, v43, v113
	v_lshrrev_b32_e32 v43, 4, v197
	v_and_b32_e32 v43, 0xf0f0f0f, v43
	v_or3_b32 v213, v208, v37, v43
	v_lshlrev_b32_e32 v37, 4, v207
	v_lshlrev_b32_e32 v43, 11, v207
	v_and_b32_e32 v37, 16, v37
	v_and_b32_e32 v43, 0x1000, v43
	v_or3_b32 v210, v210, v37, v43
	global_load_dword v43, v[44:45], off offset:64
	v_lshlrev_b32_e32 v37, 11, v211
	v_and_b32_e32 v37, 0x1000, v37
	s_waitcnt vmcnt(0)
	v_and_b32_e32 v43, 0xf0f0f0f, v43
	v_or3_b32 v211, v212, v37, v43
	v_lshlrev_b32_e32 v37, 4, v221
	v_lshlrev_b32_e32 v43, 11, v221
	v_cvt_f32_f16_e32 v221, v42
	v_and_b32_e32 v37, 16, v37
	v_and_b32_e32 v43, 0x1000, v43
	v_or3_b32 v212, v222, v37, v43
	v_lshrrev_b32_e32 v37, 4, v209
	v_cvt_f32_f16_sdwa v222, v42 dst_sel:DWORD dst_unused:UNUSED_PAD src0_sel:WORD_1
	v_mov_b32_e32 v42, 0
	v_and_b32_e32 v37, 0xf0f0f0f, v37
	v_dot4c_i32_i8 v42, v214, v50
	v_or3_b32 v209, v224, v39, v37
	v_lshlrev_b32_e32 v37, 4, v223
	v_lshlrev_b32_e32 v39, 11, v223
	v_cvt_f32_i32_e32 v42, v42
	v_cvt_f32_f16_e32 v223, v36
	v_cvt_f32_f16_sdwa v36, v36 dst_sel:DWORD dst_unused:UNUSED_PAD src0_sel:WORD_1
	v_and_b32_e32 v37, 16, v37
	v_and_b32_e32 v39, 0x1000, v39
	v_cvt_f32_f16_e32 v224, v38
	v_or3_b32 v207, v225, v37, v39
	global_load_dword v39, v[44:45], off offset:88
	v_lshlrev_b32_e32 v37, 11, v226
	v_cvt_f32_f16_sdwa v225, v38 dst_sel:DWORD dst_unused:UNUSED_PAD src0_sel:WORD_1
	v_mov_b32_e32 v38, 0
	v_mul_f32_e32 v226, v6, v224
	v_and_b32_e32 v37, 0x1000, v37
	v_dot4c_i32_i8 v38, v210, v56
	v_cvt_f32_i32_e32 v38, v38
	s_waitcnt vmcnt(0)
	v_and_b32_e32 v39, 0xf0f0f0f, v39
	v_or3_b32 v208, v227, v37, v39
	v_lshlrev_b32_e32 v37, 4, v228
	v_lshlrev_b32_e32 v39, 11, v228
	v_cvt_f32_f16_sdwa v227, v40 dst_sel:DWORD dst_unused:UNUSED_PAD src0_sel:WORD_1
	v_mov_b32_e32 v228, 0
	v_and_b32_e32 v37, 16, v37
	v_and_b32_e32 v39, 0x1000, v39
	v_or3_b32 v206, v229, v37, v39
	v_lshrrev_b32_e32 v37, 4, v231
	v_lshlrev_b32_e32 v39, 11, v41
	v_and_b32_e32 v41, 0xf0f0f0f, v126
	v_mul_f32_e32 v229, v9, v227
	v_and_b32_e32 v37, 0xf0f0f0f, v37
	v_and_b32_e32 v39, 0x1000, v39
	v_mul_f32_e32 v231, 0x3e000000, v229
	v_or3_b32 v205, v230, v39, v37
	v_lshlrev_b32_e32 v37, 4, v0
	v_lshlrev_b32_e32 v0, 11, v0
	v_dot4c_i32_i8 v228, v205, v63
	v_and_b32_e32 v37, 16, v37
	v_and_b32_e32 v0, 0x1000, v0
	v_cvt_f32_i32_e32 v228, v228
	v_or3_b32 v202, v1, v37, v0
	v_lshlrev_b32_e32 v0, 11, v124
	v_and_b32_e32 v1, 0xf0f0f0f, v248
	v_mul_f32_e32 v124, v2, v221
	v_mov_b32_e32 v248, 0
	v_and_b32_e32 v0, 0x1000, v0
	v_or3_b32 v203, v249, v0, v1
	v_lshlrev_b32_e32 v0, 4, v250
	v_lshlrev_b32_e32 v1, 11, v250
	v_mov_b32_e32 v249, 0
	v_and_b32_e32 v0, 16, v0
	v_and_b32_e32 v1, 0x1000, v1
	v_or3_b32 v204, v125, v0, v1
	v_lshrrev_b32_e32 v0, 4, v232
	v_lshlrev_b32_e32 v1, 11, v123
	v_mov_b32_e32 v125, 0
	v_and_b32_e32 v0, 0xf0f0f0f, v0
	v_and_b32_e32 v1, 0x1000, v1
	v_dot4c_i32_i8 v125, v217, v54
	v_or3_b32 v199, v251, v1, v0
	v_lshlrev_b32_e32 v0, 4, v252
	v_lshlrev_b32_e32 v1, 11, v252
	v_cvt_f32_i32_e32 v125, v125
	v_and_b32_e32 v0, 16, v0
	v_and_b32_e32 v1, 0x1000, v1
	v_or3_b32 v197, v253, v0, v1
	global_load_dword v0, v[44:45], off offset:136
	v_lshlrev_b32_e32 v1, 11, v254
	v_and_b32_e32 v1, 0x1000, v1
	s_waitcnt vmcnt(0)
	v_and_b32_e32 v0, 0xf0f0f0f, v0
	v_or3_b32 v43, v255, v1, v0
	v_lshlrev_b32_e32 v0, 4, v189
	v_lshlrev_b32_e32 v1, 11, v189
	v_mul_f32_e32 v189, v7, v225
	v_and_b32_e32 v0, 16, v0
	v_and_b32_e32 v1, 0x1000, v1
	v_mul_f32_e32 v189, 0x3e000000, v189
	v_or3_b32 v44, v147, v0, v1
	v_lshrrev_b32_e32 v0, 4, v233
	v_lshlrev_b32_e32 v1, 11, v121
	v_mul_f32_e32 v147, v4, v223
	v_fma_f32 v230, v226, v38, v189
	v_mov_b32_e32 v38, 0
	v_and_b32_e32 v0, 0xf0f0f0f, v0
	v_and_b32_e32 v1, 0x1000, v1
	v_dot4c_i32_i8 v38, v207, v60
	v_or3_b32 v37, v112, v1, v0
	v_ashrrev_i32_e32 v0, v131, v119
	v_cvt_f32_i32_e32 v38, v38
	v_lshlrev_b32_e32 v1, 18, v0
	v_lshlrev_b32_e32 v39, 25, v0
	v_and_b32_e32 v1, 0x100000, v1
	v_and_b32_e32 v39, 0x10000000, v39
	v_or3_b32 v1, v39, v41, v1
	v_lshlrev_b32_e32 v39, 4, v0
	v_lshlrev_b32_e32 v0, 11, v0
	v_and_b32_e32 v39, 16, v39
	v_and_b32_e32 v0, 0x1000, v0
	v_or3_b32 v39, v1, v39, v0
	v_ashrrev_i32_e32 v0, v148, v119
	v_lshlrev_b32_e32 v1, 4, v0
	v_lshlrev_b32_e32 v41, 18, v0
	;; [unrolled: 1-line block ×4, first 2 shown]
	v_and_b32_e32 v1, 16, v1
	v_and_b32_e32 v41, 0x100000, v41
	;; [unrolled: 1-line block ×4, first 2 shown]
	v_or3_b32 v1, v41, v45, v1
	v_and_b32_e32 v41, 0xf0f0f0f, v130
	v_mul_f32_e32 v130, v5, v36
	v_or3_b32 v41, v1, v0, v41
	v_ashrrev_i32_e32 v1, v150, v119
	v_lshrrev_b32_e32 v0, 4, v126
	v_mov_b32_e32 v126, 0
	v_mul_f32_e32 v130, 0x3e000000, v130
	v_lshlrev_b32_e32 v45, 18, v1
	v_lshlrev_b32_e32 v112, 25, v1
	v_and_b32_e32 v0, 0xf0f0f0f, v0
	v_dot4c_i32_i8 v126, v213, v55
	v_fma_f32 v125, v147, v125, v130
	v_and_b32_e32 v45, 0x100000, v45
	v_and_b32_e32 v112, 0x10000000, v112
	v_cvt_f32_i32_e32 v126, v126
	v_or3_b32 v0, v112, v0, v45
	v_lshlrev_b32_e32 v45, 4, v1
	v_lshlrev_b32_e32 v1, 11, v1
	v_and_b32_e32 v45, 16, v45
	v_and_b32_e32 v1, 0x1000, v1
	v_or3_b32 v45, v0, v45, v1
	v_ashrrev_i32_e32 v0, v168, v119
	v_lshlrev_b32_e32 v1, 4, v0
	v_lshlrev_b32_e32 v112, 18, v0
	;; [unrolled: 1-line block ×4, first 2 shown]
	v_and_b32_e32 v1, 16, v1
	v_and_b32_e32 v112, 0x100000, v112
	;; [unrolled: 1-line block ×4, first 2 shown]
	v_or3_b32 v1, v112, v113, v1
	v_lshrrev_b32_e32 v112, 4, v234
	v_and_b32_e32 v113, 0xf0f0f0f, v151
	v_mov_b32_e32 v234, 0
	v_and_b32_e32 v112, 0xf0f0f0f, v112
	v_dot4c_i32_i8 v234, v199, v67
	v_or3_b32 v119, v1, v0, v112
	v_ashrrev_i32_e32 v0, v131, v117
	v_cvt_f32_i32_e32 v234, v234
	v_dot4c_i32_i8 v244, v119, v75
	v_lshlrev_b32_e32 v1, 18, v0
	v_lshlrev_b32_e32 v112, 25, v0
	v_cvt_f32_i32_e32 v244, v244
	v_and_b32_e32 v1, 0x100000, v1
	v_and_b32_e32 v112, 0x10000000, v112
	v_or3_b32 v1, v112, v113, v1
	v_lshlrev_b32_e32 v112, 4, v0
	v_lshlrev_b32_e32 v0, 11, v0
	v_and_b32_e32 v112, 16, v112
	v_and_b32_e32 v0, 0x1000, v0
	v_or3_b32 v121, v1, v112, v0
	v_ashrrev_i32_e32 v0, v148, v117
	v_lshlrev_b32_e32 v1, 4, v0
	v_lshlrev_b32_e32 v112, 18, v0
	;; [unrolled: 1-line block ×4, first 2 shown]
	v_and_b32_e32 v1, 16, v1
	v_and_b32_e32 v112, 0x100000, v112
	;; [unrolled: 1-line block ×4, first 2 shown]
	v_or3_b32 v1, v112, v113, v1
	v_and_b32_e32 v112, 0xf0f0f0f, v247
	v_or3_b32 v123, v1, v0, v112
	v_ashrrev_i32_e32 v1, v150, v117
	v_lshrrev_b32_e32 v0, 4, v151
	v_mov_b32_e32 v151, 0
	v_lshlrev_b32_e32 v112, 18, v1
	v_lshlrev_b32_e32 v113, 25, v1
	v_and_b32_e32 v0, 0xf0f0f0f, v0
	v_dot4c_i32_i8 v151, v209, v59
	v_and_b32_e32 v112, 0x100000, v112
	v_and_b32_e32 v113, 0x10000000, v113
	v_cvt_f32_i32_e32 v151, v151
	v_or3_b32 v0, v113, v0, v112
	v_lshlrev_b32_e32 v112, 4, v1
	v_lshlrev_b32_e32 v1, 11, v1
	v_and_b32_e32 v112, 16, v112
	v_and_b32_e32 v1, 0x1000, v1
	v_or3_b32 v198, v0, v112, v1
	v_ashrrev_i32_e32 v0, v171, v117
	v_dot4c_i32_i8 v248, v198, v78
	v_lshlrev_b32_e32 v1, 4, v0
	v_lshlrev_b32_e32 v112, 18, v0
	;; [unrolled: 1-line block ×4, first 2 shown]
	v_cvt_f32_i32_e32 v248, v248
	v_and_b32_e32 v1, 16, v1
	v_and_b32_e32 v112, 0x100000, v112
	v_and_b32_e32 v113, 0x10000000, v113
	v_and_b32_e32 v0, 0x1000, v0
	v_or3_b32 v1, v112, v113, v1
	v_lshrrev_b32_e32 v112, 4, v235
	v_mul_f32_e32 v113, v3, v222
	v_and_b32_e32 v112, 0xf0f0f0f, v112
	v_mul_f32_e32 v113, 0x3e000000, v113
	v_or3_b32 v117, v1, v0, v112
	v_mov_b32_e32 v0, 0
	v_mov_b32_e32 v1, 0
	;; [unrolled: 1-line block ×3, first 2 shown]
	v_fma_f32 v42, v124, v42, v113
	v_dot4c_i32_i8 v249, v117, v79
	v_dot4c_i32_i8 v0, v219, v48
	;; [unrolled: 1-line block ×4, first 2 shown]
	v_cvt_f32_i32_e32 v249, v249
	v_cvt_f32_i32_e32 v0, v0
	v_cvt_f32_i32_e32 v1, v1
	v_cvt_f32_i32_e32 v112, v112
	v_fma_f32 v0, v124, v0, v113
	v_fma_f32 v1, v124, v1, v113
	v_fmac_f32_e32 v113, v124, v112
	v_mov_b32_e32 v112, 0
	v_mov_b32_e32 v124, 0
	v_add_f32_e32 v0, 0, v0
	v_dot4c_i32_i8 v112, v216, v52
	v_dot4c_i32_i8 v124, v218, v53
	v_add_f32_e32 v0, v0, v1
	v_cvt_f32_i32_e32 v112, v112
	v_cvt_f32_i32_e32 v124, v124
	v_add_f32_e32 v0, v42, v0
	v_fma_f32 v112, v147, v112, v130
	v_fma_f32 v124, v147, v124, v130
	v_add_f32_e32 v0, v0, v113
	v_fmac_f32_e32 v130, v147, v126
	v_mov_b32_e32 v126, 0
	v_mov_b32_e32 v147, 0
	v_add_f32_e32 v0, v0, v112
	v_dot4c_i32_i8 v126, v211, v57
	v_dot4c_i32_i8 v147, v212, v58
	v_add_f32_e32 v0, v0, v124
	v_cvt_f32_i32_e32 v126, v126
	v_cvt_f32_i32_e32 v147, v147
	v_add_f32_e32 v0, v125, v0
	v_fma_f32 v126, v226, v126, v189
	v_fma_f32 v147, v226, v147, v189
	v_fmac_f32_e32 v189, v226, v151
	v_add_f32_e32 v0, v0, v130
	v_cvt_f32_f16_e32 v226, v40
	v_mov_b32_e32 v40, 0
	v_mov_b32_e32 v151, 0
	v_add_f32_e32 v0, v0, v230
	v_mul_f32_e32 v229, v8, v226
	v_dot4c_i32_i8 v40, v208, v61
	v_dot4c_i32_i8 v151, v206, v62
	v_add_f32_e32 v0, v0, v126
	v_fma_f32 v232, v229, v38, v231
	v_cvt_f32_i32_e32 v40, v40
	v_cvt_f32_i32_e32 v151, v151
	v_cvt_f32_f16_e32 v38, v122
	v_add_f32_e32 v0, v147, v0
	v_fma_f32 v233, v229, v40, v231
	v_cvt_f32_f16_sdwa v40, v122 dst_sel:DWORD dst_unused:UNUSED_PAD src0_sel:WORD_1
	v_mov_b32_e32 v122, 0
	v_add_f32_e32 v0, v0, v189
	v_fma_f32 v151, v229, v151, v231
	v_fmac_f32_e32 v231, v229, v228
	v_mov_b32_e32 v228, 0
	v_dot4c_i32_i8 v122, v202, v64
	v_add_f32_e32 v0, v0, v232
	v_mul_f32_e32 v235, v11, v40
	v_mov_b32_e32 v229, 0
	v_dot4c_i32_i8 v228, v203, v65
	v_cvt_f32_i32_e32 v122, v122
	v_add_f32_e32 v0, v0, v233
	v_mul_f32_e32 v235, 0x3e000000, v235
	v_mul_f32_e32 v236, v10, v38
	v_dot4c_i32_i8 v229, v204, v66
	v_cvt_f32_i32_e32 v228, v228
	v_add_f32_e32 v0, v151, v0
	v_fma_f32 v237, v236, v122, v235
	v_cvt_f32_i32_e32 v229, v229
	v_fma_f32 v238, v236, v228, v235
	v_add_f32_e32 v0, v0, v231
	v_cvt_f32_f16_e32 v122, v120
	v_cvt_f32_f16_sdwa v120, v120 dst_sel:DWORD dst_unused:UNUSED_PAD src0_sel:WORD_1
	v_mov_b32_e32 v228, 0
	v_fma_f32 v239, v236, v229, v235
	v_add_f32_e32 v0, v0, v237
	v_mov_b32_e32 v229, 0
	v_mul_f32_e32 v240, v13, v120
	v_dot4c_i32_i8 v228, v197, v68
	v_fmac_f32_e32 v235, v236, v234
	v_add_f32_e32 v0, v0, v238
	v_dot4c_i32_i8 v229, v43, v69
	v_mov_b32_e32 v234, 0
	v_cvt_f32_i32_e32 v228, v228
	v_mov_b32_e32 v236, 0
	v_mul_f32_e32 v240, 0x3e000000, v240
	v_mul_f32_e32 v241, v12, v122
	v_add_f32_e32 v0, v239, v0
	v_dot4c_i32_i8 v234, v44, v70
	v_dot4c_i32_i8 v236, v37, v71
	v_cvt_f32_i32_e32 v229, v229
	v_fma_f32 v242, v241, v228, v240
	v_add_f32_e32 v0, v0, v235
	v_cvt_f32_i32_e32 v234, v234
	v_cvt_f32_i32_e32 v236, v236
	v_fma_f32 v243, v241, v229, v240
	v_cvt_f32_f16_e32 v228, v118
	v_cvt_f32_f16_sdwa v118, v118 dst_sel:DWORD dst_unused:UNUSED_PAD src0_sel:WORD_1
	v_mov_b32_e32 v229, 0
	v_add_f32_e32 v0, v0, v242
	v_fma_f32 v234, v241, v234, v240
	v_fmac_f32_e32 v240, v241, v236
	v_mov_b32_e32 v236, 0
	v_dot4c_i32_i8 v229, v39, v72
	v_mov_b32_e32 v241, 0
	v_mul_f32_e32 v245, v15, v118
	v_add_f32_e32 v0, v0, v243
	v_dot4c_i32_i8 v236, v41, v73
	v_cvt_f32_i32_e32 v229, v229
	v_dot4c_i32_i8 v241, v45, v74
	v_mul_f32_e32 v245, 0x3e000000, v245
	v_mul_f32_e32 v246, v14, v228
	v_add_f32_e32 v0, v234, v0
	v_cvt_f32_i32_e32 v236, v236
	v_cvt_f32_i32_e32 v241, v241
	v_fma_f32 v247, v246, v229, v245
	v_add_f32_e32 v0, v0, v240
	v_fma_f32 v236, v246, v236, v245
	v_fma_f32 v241, v246, v241, v245
	v_fmac_f32_e32 v245, v246, v244
	v_cvt_f32_f16_e32 v229, v116
	v_cvt_f32_f16_sdwa v116, v116 dst_sel:DWORD dst_unused:UNUSED_PAD src0_sel:WORD_1
	v_mov_b32_e32 v244, 0
	v_add_f32_e32 v0, v0, v247
	v_mov_b32_e32 v246, 0
	v_mul_f32_e32 v251, v16, v229
	v_mul_f32_e32 v250, v17, v116
	v_dot4c_i32_i8 v244, v121, v76
	v_add_f32_e32 v0, v0, v236
	v_dot4c_i32_i8 v246, v123, v77
	v_mul_f32_e32 v250, 0x3e000000, v250
	v_cvt_f32_i32_e32 v244, v244
	v_add_f32_e32 v0, v241, v0
	v_cvt_f32_i32_e32 v246, v246
	v_fma_f32 v248, v251, v248, v250
	v_fma_f32 v244, v251, v244, v250
	v_add_f32_e32 v0, v0, v245
	v_fma_f32 v246, v251, v246, v250
	v_fmac_f32_e32 v250, v251, v249
	v_add_f32_e32 v0, v0, v244
	v_add_f32_e32 v0, v0, v246
	;; [unrolled: 1-line block ×4, first 2 shown]
	ds_bpermute_b32 v1, v174, v0
	s_waitcnt lgkmcnt(0)
	v_add_f32_e32 v42, v0, v1
	s_cbranch_vccnz .LBB28_28
; %bb.27:                               ;   in Loop: Header=BB28_22 Depth=1
	global_load_ushort v0, v196, s[4:5] offset:2
	s_waitcnt vmcnt(0)
	v_fma_mix_f32 v42, v127, v0, v42 op_sel_hi:[0,1,0]
.LBB28_28:                              ;   in Loop: Header=BB28_22 Depth=1
	v_mov_b32_e32 v0, 0
	v_mov_b32_e32 v1, 0
	;; [unrolled: 1-line block ×4, first 2 shown]
	v_mul_f32_e32 v124, v19, v222
	v_dot4c_i32_i8 v0, v219, v80
	v_dot4c_i32_i8 v1, v215, v81
	;; [unrolled: 1-line block ×4, first 2 shown]
	v_mul_f32_e32 v125, v18, v221
	v_mul_f32_e32 v124, 0x3e000000, v124
	v_cvt_f32_i32_e32 v0, v0
	v_cvt_f32_i32_e32 v1, v1
	;; [unrolled: 1-line block ×4, first 2 shown]
	v_mov_b32_e32 v126, 0
	v_fma_f32 v0, v125, v0, v124
	v_fma_f32 v1, v125, v1, v124
	v_fma_f32 v112, v125, v112, v124
	v_fmac_f32_e32 v124, v125, v113
	v_mov_b32_e32 v113, 0
	v_mov_b32_e32 v125, 0
	;; [unrolled: 1-line block ×3, first 2 shown]
	v_dot4c_i32_i8 v126, v217, v86
	v_mul_f32_e32 v36, v21, v36
	v_dot4c_i32_i8 v113, v216, v84
	v_dot4c_i32_i8 v125, v218, v85
	;; [unrolled: 1-line block ×3, first 2 shown]
	v_add_f32_e32 v0, 0, v0
	v_mul_f32_e32 v147, v20, v223
	v_mul_f32_e32 v36, 0x3e000000, v36
	v_cvt_f32_i32_e32 v113, v113
	v_cvt_f32_i32_e32 v125, v125
	;; [unrolled: 1-line block ×4, first 2 shown]
	v_add_f32_e32 v0, v0, v1
	v_fma_f32 v113, v147, v113, v36
	v_fma_f32 v125, v147, v125, v36
	;; [unrolled: 1-line block ×3, first 2 shown]
	v_fmac_f32_e32 v36, v147, v130
	v_mov_b32_e32 v130, 0
	v_mov_b32_e32 v147, 0
	;; [unrolled: 1-line block ×4, first 2 shown]
	v_add_f32_e32 v0, v112, v0
	v_dot4c_i32_i8 v130, v210, v88
	v_dot4c_i32_i8 v147, v211, v89
	;; [unrolled: 1-line block ×4, first 2 shown]
	v_mul_f32_e32 v196, v23, v225
	v_add_f32_e32 v0, v0, v124
	v_mul_f32_e32 v209, v22, v224
	v_cvt_f32_i32_e32 v130, v130
	v_cvt_f32_i32_e32 v147, v147
	v_mul_f32_e32 v196, 0x3e000000, v196
	v_cvt_f32_i32_e32 v151, v151
	v_cvt_f32_i32_e32 v189, v189
	v_add_f32_e32 v0, v0, v113
	v_mov_b32_e32 v1, 0
	v_fma_f32 v130, v209, v130, v196
	v_fma_f32 v147, v209, v147, v196
	;; [unrolled: 1-line block ×3, first 2 shown]
	v_fmac_f32_e32 v196, v209, v189
	v_mov_b32_e32 v189, 0
	v_add_f32_e32 v0, v0, v125
	v_mul_f32_e32 v209, v24, v226
	v_dot4c_i32_i8 v1, v202, v96
	v_mul_f32_e32 v40, v27, v40
	v_dot4c_i32_i8 v189, v207, v92
	v_mov_b32_e32 v207, 0
	v_add_f32_e32 v0, v126, v0
	v_mov_b32_e32 v112, 0
	v_mul_f32_e32 v38, v26, v38
	v_cvt_f32_i32_e32 v189, v189
	v_dot4c_i32_i8 v207, v208, v93
	v_mov_b32_e32 v208, 0
	v_add_f32_e32 v0, v0, v36
	v_mov_b32_e32 v36, 0
	v_cvt_f32_i32_e32 v1, v1
	v_cvt_f32_i32_e32 v207, v207
	v_dot4c_i32_i8 v208, v206, v94
	v_mov_b32_e32 v206, 0
	v_add_f32_e32 v0, v0, v130
	v_dot4c_i32_i8 v36, v203, v97
	v_mul_f32_e32 v40, 0x3e000000, v40
	v_cvt_f32_i32_e32 v208, v208
	v_dot4c_i32_i8 v206, v205, v95
	v_mul_f32_e32 v205, v25, v227
	v_add_f32_e32 v0, v0, v147
	v_mov_b32_e32 v113, 0
	v_dot4c_i32_i8 v112, v204, v98
	v_cvt_f32_i32_e32 v206, v206
	v_mul_f32_e32 v205, 0x3e000000, v205
	v_add_f32_e32 v0, v151, v0
	v_cvt_f32_i32_e32 v36, v36
	v_fma_f32 v1, v38, v1, v40
	v_dot4c_i32_i8 v113, v199, v99
	v_fma_f32 v189, v209, v189, v205
	v_add_f32_e32 v0, v0, v196
	v_fma_f32 v207, v209, v207, v205
	v_fma_f32 v208, v209, v208, v205
	v_fmac_f32_e32 v205, v209, v206
	v_cvt_f32_i32_e32 v112, v112
	v_add_f32_e32 v0, v0, v189
	v_fma_f32 v36, v38, v36, v40
	s_andn2_b32 vcc_lo, exec_lo, s12
	v_fma_f32 v112, v38, v112, v40
	v_add_f32_e32 v0, v0, v207
	v_add_f32_e32 v0, v208, v0
	;; [unrolled: 1-line block ×4, first 2 shown]
	v_cvt_f32_i32_e32 v1, v113
	v_mov_b32_e32 v113, 0
	v_add_f32_e32 v0, v0, v36
	v_fmac_f32_e32 v40, v38, v1
	v_dot4c_i32_i8 v113, v197, v100
	v_mul_f32_e32 v1, v29, v120
	v_mov_b32_e32 v36, 0
	v_add_f32_e32 v0, v112, v0
	v_mul_f32_e32 v38, v28, v122
	v_cvt_f32_i32_e32 v112, v113
	v_mul_f32_e32 v1, 0x3e000000, v1
	v_dot4c_i32_i8 v36, v43, v101
	v_mov_b32_e32 v43, 0
	v_add_f32_e32 v0, v0, v40
	v_fma_f32 v40, v38, v112, v1
	v_cvt_f32_i32_e32 v36, v36
	v_dot4c_i32_i8 v43, v44, v102
	v_add_f32_e32 v0, v0, v40
	v_fma_f32 v36, v38, v36, v1
	v_mov_b32_e32 v40, 0
	v_cvt_f32_i32_e32 v43, v43
	v_add_f32_e32 v0, v0, v36
	v_dot4c_i32_i8 v40, v37, v103
	v_fma_f32 v36, v38, v43, v1
	v_mov_b32_e32 v37, 0
	v_cvt_f32_i32_e32 v40, v40
	v_add_f32_e32 v0, v36, v0
	v_dot4c_i32_i8 v37, v39, v104
	v_mul_f32_e32 v36, v31, v118
	v_mov_b32_e32 v39, 0
	v_fmac_f32_e32 v1, v38, v40
	v_mul_f32_e32 v38, v30, v228
	v_cvt_f32_i32_e32 v37, v37
	v_mul_f32_e32 v36, 0x3e000000, v36
	v_dot4c_i32_i8 v39, v41, v105
	v_mov_b32_e32 v40, 0
	v_add_f32_e32 v0, v0, v1
	v_fma_f32 v1, v38, v37, v36
	v_cvt_f32_i32_e32 v37, v39
	v_dot4c_i32_i8 v40, v45, v106
	v_add_f32_e32 v0, v0, v1
	v_fma_f32 v1, v38, v37, v36
	v_mov_b32_e32 v37, 0
	v_cvt_f32_i32_e32 v39, v40
	v_mov_b32_e32 v40, 0
	v_add_f32_e32 v0, v0, v1
	v_dot4c_i32_i8 v37, v119, v107
	v_fma_f32 v1, v38, v39, v36
	v_mov_b32_e32 v39, 0
	v_dot4c_i32_i8 v40, v123, v109
	v_cvt_f32_i32_e32 v37, v37
	v_add_f32_e32 v0, v1, v0
	v_dot4c_i32_i8 v39, v121, v108
	v_mul_f32_e32 v1, v33, v116
	v_fmac_f32_e32 v36, v38, v37
	v_mul_f32_e32 v37, v32, v229
	v_cvt_f32_i32_e32 v38, v39
	v_mul_f32_e32 v1, 0x3e000000, v1
	v_mov_b32_e32 v39, 0
	v_add_f32_e32 v0, v0, v36
	v_fma_f32 v36, v37, v38, v1
	v_cvt_f32_i32_e32 v38, v40
	v_dot4c_i32_i8 v39, v198, v110
	v_mov_b32_e32 v40, 0
	v_add_f32_e32 v0, v0, v36
	v_fma_f32 v36, v37, v38, v1
	v_cvt_f32_i32_e32 v38, v39
	v_dot4c_i32_i8 v40, v117, v111
	v_add_f32_e32 v0, v0, v36
	v_fma_f32 v36, v37, v38, v1
	v_cvt_f32_i32_e32 v38, v40
	v_add_f32_e32 v0, v36, v0
	v_fmac_f32_e32 v1, v37, v38
	v_add_f32_e32 v0, v0, v1
	ds_bpermute_b32 v1, v174, v0
	s_waitcnt lgkmcnt(0)
	v_add_f32_e32 v43, v0, v1
	s_cbranch_vccnz .LBB28_21
; %bb.29:                               ;   in Loop: Header=BB28_22 Depth=1
	s_clause 0x1
	buffer_load_dword v0, off, s[52:55], 0 offset:12
	buffer_load_dword v1, off, s[52:55], 0 offset:16
	s_waitcnt vmcnt(1)
	v_add_co_u32 v36, vcc_lo, s4, v0
	s_waitcnt vmcnt(0)
	v_add_co_ci_u32_e64 v37, null, s5, v1, vcc_lo
	global_load_ushort v0, v[36:37], off offset:2
	s_waitcnt vmcnt(0)
	v_fma_mix_f32 v43, v127, v0, v43 op_sel_hi:[0,1,0]
	s_branch .LBB28_21
.LBB28_30:
	s_clause 0x4
	buffer_load_dword v41, off, s[52:55], 0 offset:20
	buffer_load_dword v38, off, s[52:55], 0 offset:24
	;; [unrolled: 1-line block ×5, first 2 shown]
	v_mbcnt_lo_u32_b32 v43, -1, 0
.LBB28_31:
	s_cmp_eq_u64 s[20:21], 0
	s_cselect_b32 s1, -1, 0
	s_cmp_lg_u32 s34, 0
	s_cselect_b32 s2, -1, 0
	s_or_b32 s1, s2, s1
	s_nor_b32 s0, s1, s0
	s_and_saveexec_b32 s1, s0
	s_cbranch_execz .LBB28_33
; %bb.32:
	s_ashr_i32 s39, s38, 31
	s_waitcnt vmcnt(3)
	v_cmp_eq_u32_e32 vcc_lo, 1, v38
	s_lshl_b64 s[2:3], s[38:39], 2
	v_lshl_add_u32 v9, v38, 4, v129
	s_add_u32 s2, s20, s2
	s_addc_u32 s3, s21, s3
	v_cndmask_b32_e32 v0, v116, v117, vcc_lo
	s_load_dword s0, s[2:3], 0x0
	v_max_f32_e32 v1, v0, v0
	s_waitcnt lgkmcnt(0)
	v_max_f32_e64 v2, s0, s0
	v_max_f32_e32 v1, v1, v2
	v_sub_f32_e32 v0, v0, v1
	v_sub_f32_e32 v6, s0, v1
	v_cndmask_b32_e32 v117, v117, v1, vcc_lo
	v_mul_f32_e32 v2, 0x3fb8aa3b, v0
	v_mul_f32_e32 v3, 0x3fb8aa3b, v6
	v_cmp_ngt_f32_e64 s0, 0xc2ce8ed0, v0
	v_fma_f32 v4, 0x3fb8aa3b, v0, -v2
	v_rndne_f32_e32 v5, v2
	v_fma_f32 v7, 0x3fb8aa3b, v6, -v3
	v_rndne_f32_e32 v8, v3
	v_fmac_f32_e32 v4, 0x32a5705f, v0
	v_sub_f32_e32 v2, v2, v5
	v_fmac_f32_e32 v7, 0x32a5705f, v6
	v_sub_f32_e32 v3, v3, v8
	v_cvt_i32_f32_e32 v8, v8
	v_add_f32_e32 v2, v2, v4
	v_add_f32_e32 v3, v3, v7
	v_exp_f32_e32 v2, v2
	v_exp_f32_e32 v7, v3
	v_cvt_i32_f32_e32 v3, v5
	v_ldexp_f32 v10, v2, v3
	ds_read_b128 v[2:5], v9
	v_ldexp_f32 v7, v7, v8
	v_cndmask_b32_e64 v8, 0, v10, s0
	v_cmp_ngt_f32_e64 s0, 0xc2ce8ed0, v6
	v_cndmask_b32_e32 v10, v46, v47, vcc_lo
	v_cndmask_b32_e64 v7, 0, v7, s0
	v_cmp_nlt_f32_e64 s0, 0x42b17218, v0
	v_cndmask_b32_e64 v0, 0x7f800000, v8, s0
	v_cmp_nlt_f32_e64 s0, 0x42b17218, v6
	v_mov_b32_e32 v8, 0x10001
	v_cndmask_b32_e64 v6, 0x7f800000, v7, s0
	v_cmp_eq_u32_e64 s0, 0, v41
	v_cvt_f16_f32_e32 v7, v0
	v_cndmask_b32_e64 v6, 0, v6, s0
	v_mul_u32_u24_sdwa v7, v7, v8 dst_sel:DWORD dst_unused:UNUSED_PAD src0_sel:WORD_0 src1_sel:DWORD
	v_cmp_eq_u32_e64 s0, 0, v38
	v_fmac_f32_e32 v6, v10, v0
	s_waitcnt lgkmcnt(0)
	v_pk_mul_f16 v2, v2, v7
	v_cndmask_b32_e64 v116, v116, v1, s0
	v_pk_mul_f16 v3, v3, v7
	v_pk_mul_f16 v4, v4, v7
	;; [unrolled: 1-line block ×3, first 2 shown]
	v_cndmask_b32_e32 v47, v47, v6, vcc_lo
	v_cndmask_b32_e64 v46, v46, v6, s0
	ds_write_b128 v9, v[2:5]
.LBB28_33:
	s_or_b32 exec_lo, exec_lo, s1
	s_waitcnt vmcnt(1)
	v_add_nc_u32_e32 v4, 0x900, v42
	v_or_b32_e32 v10, 0x800, v42
	s_mov_b32 s0, exec_lo
	v_cmpx_eq_u32_e32 0, v38
	s_cbranch_execz .LBB28_35
; %bb.34:
	v_mov_b32_e32 v0, 0xfeffffff
	v_mov_b32_e32 v1, 0
	ds_write2_b32 v10, v0, v0 offset1:32
	ds_write2_b32 v4, v1, v1 offset1:32
.LBB28_35:
	s_or_b32 exec_lo, exec_lo, s0
	v_cmp_eq_u32_e64 s0, 0, v41
	s_waitcnt vmcnt(0) lgkmcnt(0)
	s_waitcnt_vscnt null, 0x0
	s_barrier
	buffer_gl0_inv
	s_and_saveexec_b32 s1, s0
; %bb.36:
	v_lshlrev_b32_e32 v0, 2, v38
	v_add_nc_u32_e32 v0, 0x800, v0
	ds_write2_b32 v0, v116, v117 offset1:32
; %bb.37:
	s_or_b32 exec_lo, exec_lo, s1
	s_cmp_lt_i32 s35, s36
	s_waitcnt lgkmcnt(0)
	s_barrier
	buffer_gl0_inv
	s_cbranch_scc1 .LBB28_39
; %bb.38:
	s_load_dword s3, s[6:7], 0xd4
	s_cbranch_execz .LBB28_40
	s_branch .LBB28_47
.LBB28_39:
                                        ; implicit-def: $sgpr3
.LBB28_40:
	ds_read_b32 v0, v10
	v_xor_b32_e32 v1, 16, v43
	v_xor_b32_e32 v2, 8, v43
	s_waitcnt lgkmcnt(0)
	s_load_dword s3, s[6:7], 0xd4
	v_lshlrev_b32_e32 v20, 3, v41
	v_cmp_gt_i32_e32 vcc_lo, 32, v1
	v_cndmask_b32_e32 v1, v43, v1, vcc_lo
	v_cmp_gt_i32_e32 vcc_lo, 32, v2
	v_lshlrev_b32_e32 v5, 2, v1
	v_cndmask_b32_e32 v2, v43, v2, vcc_lo
	ds_bpermute_b32 v1, v5, v0
	v_max_f32_e32 v0, v0, v0
	v_lshlrev_b32_e32 v6, 2, v2
	v_xor_b32_e32 v2, 4, v43
	v_cmp_gt_i32_e32 vcc_lo, 32, v2
	v_cndmask_b32_e32 v2, v43, v2, vcc_lo
	v_lshlrev_b32_e32 v7, 2, v2
	v_xor_b32_e32 v2, 2, v43
	s_waitcnt lgkmcnt(0)
	v_max_f32_e32 v1, v1, v1
	v_cmp_gt_i32_e32 vcc_lo, 32, v2
	v_max_f32_e32 v0, v0, v1
	v_cndmask_b32_e32 v2, v43, v2, vcc_lo
	ds_bpermute_b32 v1, v6, v0
	v_lshlrev_b32_e32 v9, 2, v2
	v_xor_b32_e32 v2, 1, v43
	v_cmp_gt_i32_e32 vcc_lo, 32, v2
	v_cndmask_b32_e32 v2, v43, v2, vcc_lo
	v_lshlrev_b32_e32 v8, 2, v2
	s_waitcnt lgkmcnt(0)
	v_max_f32_e32 v1, v1, v1
	v_max_f32_e32 v0, v0, v1
	ds_bpermute_b32 v1, v7, v0
	s_waitcnt lgkmcnt(0)
	v_max_f32_e32 v1, v1, v1
	v_max_f32_e32 v0, v0, v1
	ds_bpermute_b32 v1, v9, v0
	;; [unrolled: 4-line block ×3, first 2 shown]
	s_waitcnt lgkmcnt(0)
	v_max_f32_e32 v1, v1, v1
	v_max_f32_e32 v2, v0, v1
	v_sub_f32_e32 v0, v116, v2
	v_mul_f32_e32 v1, 0x3fb8aa3b, v0
	v_cmp_ngt_f32_e32 vcc_lo, 0xc2ce8ed0, v0
	v_fma_f32 v3, 0x3fb8aa3b, v0, -v1
	v_rndne_f32_e32 v11, v1
	v_fmamk_f32 v3, v0, 0x32a5705f, v3
	v_sub_f32_e32 v1, v1, v11
	v_add_f32_e32 v1, v1, v3
	v_cvt_i32_f32_e32 v3, v11
	ds_read_b128 v[11:14], v129
	v_exp_f32_e32 v1, v1
	v_ldexp_f32 v1, v1, v3
	v_cndmask_b32_e32 v1, 0, v1, vcc_lo
	v_cmp_nlt_f32_e32 vcc_lo, 0x42b17218, v0
	v_cndmask_b32_e32 v0, 0x7f800000, v1, vcc_lo
	v_mul_f32_e32 v1, v0, v46
	ds_bpermute_b32 v1, v5, v1
	s_waitcnt lgkmcnt(0)
	v_fmac_f32_e32 v1, v0, v46
	v_cvt_f16_f32_e32 v0, v0
	ds_bpermute_b32 v3, v6, v1
	s_waitcnt lgkmcnt(0)
	v_add_f32_e32 v1, v1, v3
	ds_bpermute_b32 v3, v7, v1
	s_waitcnt lgkmcnt(0)
	v_add_f32_e32 v1, v1, v3
	ds_bpermute_b32 v3, v9, v1
	s_waitcnt lgkmcnt(0)
	v_add_f32_e32 v3, v1, v3
	v_mov_b32_e32 v1, 0x10001
	ds_bpermute_b32 v19, v8, v3
	v_mul_u32_u24_sdwa v0, v0, v1 dst_sel:DWORD dst_unused:UNUSED_PAD src0_sel:WORD_0 src1_sel:DWORD
	v_lshl_add_u32 v1, v38, 2, 0x900
	v_pk_mul_f16 v15, v11, v0
	v_pk_mul_f16 v16, v12, v0
	;; [unrolled: 1-line block ×4, first 2 shown]
	v_add_nc_u32_e32 v11, v39, v20
	ds_write_b128 v129, v[15:18]
	ds_write2_b64 v11, v[15:16], v[17:18] offset1:32
	s_waitcnt lgkmcnt(2)
	v_add_f32_e32 v3, v3, v19
	s_and_saveexec_b32 s1, s0
; %bb.41:
	ds_write_b32 v1, v3
; %bb.42:
	s_or_b32 exec_lo, exec_lo, s1
	s_waitcnt lgkmcnt(0)
	s_barrier
	buffer_gl0_inv
	ds_read_b32 v0, v4
	ds_read_u16 v3, v128
	ds_read_u16 v12, v128 offset:1280
	ds_read_u16 v13, v128 offset:768
	;; [unrolled: 1-line block ×6, first 2 shown]
	s_cmp_eq_u32 s3, 1
	s_mul_i32 s4, s33, s36
	s_cselect_b32 s1, -1, 0
	s_add_i32 s4, s4, s35
	s_mul_i32 s4, s4, s37
	s_add_i32 s4, s4, s38
	s_mul_i32 s5, s3, s4
	s_add_i32 s5, s5, s34
	s_waitcnt lgkmcnt(7)
	ds_bpermute_b32 v15, v5, v0
	s_waitcnt lgkmcnt(7)
	v_cvt_f32_f16_e32 v3, v3
	s_waitcnt lgkmcnt(6)
	v_cvt_f32_f16_e32 v12, v12
	;; [unrolled: 2-line block ×5, first 2 shown]
	v_add_f32_e32 v3, 0, v3
	v_cvt_f32_f16_e32 v14, v14
	v_add_f32_e32 v3, v3, v16
	ds_read_u16 v16, v128 offset:1792
	v_add_f32_e32 v3, v3, v17
	s_waitcnt lgkmcnt(1)
	v_add_f32_e32 v0, v0, v15
	v_add_f32_e32 v3, v3, v18
	ds_bpermute_b32 v15, v6, v0
	s_waitcnt lgkmcnt(0)
	v_add_f32_e32 v0, v0, v15
	ds_bpermute_b32 v15, v7, v0
	s_waitcnt lgkmcnt(0)
	;; [unrolled: 3-line block ×4, first 2 shown]
	v_add_f32_e32 v46, v0, v15
	v_cvt_f32_f16_e32 v0, v13
	v_add_f32_e32 v13, 0, v14
	v_cvt_f32_f16_e32 v15, v16
	v_div_scale_f32 v14, null, v46, v46, v3
	v_add_f32_e32 v0, v13, v0
	v_div_scale_f32 v16, vcc_lo, v3, v46, v3
	v_rcp_f32_e32 v13, v14
	v_add_f32_e32 v0, v0, v12
	v_add_f32_e32 v0, v0, v15
	v_fma_f32 v12, -v14, v13, 1.0
	v_div_scale_f32 v15, null, v46, v46, v0
	v_fmac_f32_e32 v13, v12, v13
	v_rcp_f32_e32 v17, v15
	v_mul_f32_e32 v12, v16, v13
	v_fma_f32 v18, -v14, v12, v16
	v_fma_f32 v19, -v15, v17, 1.0
	v_fmac_f32_e32 v12, v18, v13
	v_div_scale_f32 v18, s2, v0, v46, v0
	v_fmac_f32_e32 v17, v19, v17
	v_fma_f32 v14, -v14, v12, v16
	v_mul_f32_e32 v16, v18, v17
	v_div_fmas_f32 v12, v14, v13, v12
	s_mov_b32 vcc_lo, s2
	s_or_b32 s2, s35, 1
	v_fma_f32 v13, -v15, v16, v18
	s_cmp_ge_i32 s2, s36
	v_div_fixup_f32 v14, v12, v46, v3
	v_lshl_or_b32 v12, s5, 8, v35
	v_fmac_f32_e32 v16, v13, v17
	v_mov_b32_e32 v13, 0
	v_cndmask_b32_e64 v14, v3, v14, s1
	v_mov_b32_e32 v3, v117
	v_fma_f32 v15, -v15, v16, v18
	v_lshlrev_b64 v[12:13], 2, v[12:13]
	v_div_fmas_f32 v15, v15, v17, v16
	v_add_co_u32 v12, vcc_lo, s24, v12
	v_add_co_ci_u32_e64 v13, null, s25, v13, vcc_lo
	v_div_fixup_f32 v15, v15, v46, v0
	v_cndmask_b32_e64 v0, v0, v15, s1
	global_store_dword v[12:13], v14, off
	global_store_dword v[12:13], v0, off offset:512
	s_waitcnt_vscnt null, 0x0
	s_barrier
	buffer_gl0_inv
	s_cbranch_scc1 .LBB28_46
; %bb.43:
	ds_read_b32 v0, v10 offset:128
	v_mov_b32_e32 v17, 0x10001
	s_waitcnt lgkmcnt(0)
	ds_bpermute_b32 v3, v5, v0
	v_max_f32_e32 v0, v0, v0
	s_waitcnt lgkmcnt(0)
	v_max_f32_e32 v3, v3, v3
	v_max_f32_e32 v0, v0, v3
	ds_bpermute_b32 v3, v6, v0
	s_waitcnt lgkmcnt(0)
	v_max_f32_e32 v3, v3, v3
	v_max_f32_e32 v0, v0, v3
	ds_bpermute_b32 v3, v7, v0
	;; [unrolled: 4-line block ×4, first 2 shown]
	s_waitcnt lgkmcnt(0)
	v_max_f32_e32 v3, v3, v3
	v_max_f32_e32 v3, v0, v3
	v_sub_f32_e32 v0, v117, v3
	v_mul_f32_e32 v10, 0x3fb8aa3b, v0
	v_cmp_ngt_f32_e32 vcc_lo, 0xc2ce8ed0, v0
	v_fma_f32 v12, 0x3fb8aa3b, v0, -v10
	v_rndne_f32_e32 v13, v10
	v_fmamk_f32 v12, v0, 0x32a5705f, v12
	v_sub_f32_e32 v10, v10, v13
	v_add_f32_e32 v10, v10, v12
	v_cvt_i32_f32_e32 v12, v13
	v_exp_f32_e32 v10, v10
	v_ldexp_f32 v10, v10, v12
	v_cndmask_b32_e32 v10, 0, v10, vcc_lo
	v_cmp_nlt_f32_e32 vcc_lo, 0x42b17218, v0
	v_cndmask_b32_e32 v0, 0x7f800000, v10, vcc_lo
	v_mul_f32_e32 v10, v0, v47
	ds_bpermute_b32 v10, v5, v10
	s_waitcnt lgkmcnt(0)
	v_fmac_f32_e32 v10, v0, v47
	v_cvt_f16_f32_e32 v0, v0
	ds_bpermute_b32 v12, v6, v10
	v_mul_u32_u24_sdwa v0, v0, v17 dst_sel:DWORD dst_unused:UNUSED_PAD src0_sel:WORD_0 src1_sel:DWORD
	s_waitcnt lgkmcnt(0)
	v_add_f32_e32 v10, v10, v12
	ds_bpermute_b32 v12, v7, v10
	s_waitcnt lgkmcnt(0)
	v_add_f32_e32 v10, v10, v12
	ds_read_b128 v[12:15], v129 offset:16
	ds_bpermute_b32 v16, v9, v10
	s_waitcnt lgkmcnt(1)
	v_pk_mul_f16 v12, v12, v0
	v_pk_mul_f16 v13, v13, v0
	;; [unrolled: 1-line block ×4, first 2 shown]
	s_waitcnt lgkmcnt(0)
	v_add_f32_e32 v10, v10, v16
	ds_write_b128 v129, v[12:15] offset:16
	ds_write2_b64 v11, v[12:13], v[14:15] offset1:32
	ds_bpermute_b32 v16, v8, v10
	s_waitcnt lgkmcnt(0)
	v_add_f32_e32 v10, v10, v16
	s_and_saveexec_b32 s2, s0
; %bb.44:
	ds_write_b32 v1, v10 offset:128
; %bb.45:
	s_or_b32 exec_lo, exec_lo, s2
	s_waitcnt lgkmcnt(0)
	s_barrier
	buffer_gl0_inv
	ds_read_b32 v0, v4 offset:128
	ds_read_u16 v1, v128
	ds_read_u16 v4, v128 offset:1280
	ds_read_u16 v10, v128 offset:768
	;; [unrolled: 1-line block ×3, first 2 shown]
	s_add_i32 s4, s4, s37
	s_mul_i32 s2, s3, s4
	s_add_i32 s2, s2, s34
	s_waitcnt lgkmcnt(4)
	ds_bpermute_b32 v5, v5, v0
	s_waitcnt lgkmcnt(4)
	v_cvt_f32_f16_e32 v1, v1
	s_waitcnt lgkmcnt(3)
	v_cvt_f32_f16_e32 v4, v4
	;; [unrolled: 2-line block ×4, first 2 shown]
	v_add_f32_e32 v1, 0, v1
	v_add_f32_e32 v11, 0, v11
	s_waitcnt lgkmcnt(0)
	v_add_f32_e32 v0, v0, v5
	ds_bpermute_b32 v5, v6, v0
	s_waitcnt lgkmcnt(0)
	v_add_f32_e32 v0, v0, v5
	ds_bpermute_b32 v5, v7, v0
	;; [unrolled: 3-line block ×3, first 2 shown]
	ds_read_u16 v6, v128 offset:512
	ds_read_u16 v7, v128 offset:1024
	;; [unrolled: 1-line block ×3, first 2 shown]
	s_waitcnt lgkmcnt(2)
	v_cvt_f32_f16_e32 v6, v6
	v_add_f32_e32 v0, v0, v5
	ds_read_u16 v5, v128 offset:1792
	s_waitcnt lgkmcnt(2)
	v_cvt_f32_f16_e32 v7, v7
	s_waitcnt lgkmcnt(1)
	v_cvt_f32_f16_e32 v9, v9
	v_add_f32_e32 v1, v1, v6
	ds_bpermute_b32 v8, v8, v0
	v_add_f32_e32 v6, v11, v10
	v_add_f32_e32 v1, v1, v7
	;; [unrolled: 1-line block ×4, first 2 shown]
	s_waitcnt lgkmcnt(1)
	v_cvt_f32_f16_e32 v5, v5
	s_waitcnt lgkmcnt(0)
	v_add_f32_e32 v47, v0, v8
	v_add_f32_e32 v0, v4, v5
	v_div_scale_f32 v4, null, v47, v47, v1
	v_div_scale_f32 v6, null, v47, v47, v0
	v_div_scale_f32 v10, vcc_lo, v1, v47, v1
	v_rcp_f32_e32 v7, v4
	v_rcp_f32_e32 v8, v6
	v_div_scale_f32 v11, s0, v0, v47, v0
	v_fma_f32 v5, -v4, v7, 1.0
	v_fma_f32 v9, -v6, v8, 1.0
	v_fmac_f32_e32 v7, v5, v7
	v_fmac_f32_e32 v8, v9, v8
	v_mul_f32_e32 v9, v10, v7
	v_mul_f32_e32 v12, v11, v8
	v_fma_f32 v5, -v4, v9, v10
	v_fma_f32 v13, -v6, v12, v11
	v_fmac_f32_e32 v9, v5, v7
	v_fmac_f32_e32 v12, v13, v8
	v_mov_b32_e32 v5, 0
	v_fma_f32 v4, -v4, v9, v10
	v_fma_f32 v6, -v6, v12, v11
	v_div_fmas_f32 v7, v4, v7, v9
	v_lshl_or_b32 v4, s2, 8, v35
	s_mov_b32 vcc_lo, s0
	v_div_fmas_f32 v6, v6, v8, v12
	v_div_fixup_f32 v7, v7, v47, v1
	v_lshlrev_b64 v[4:5], 2, v[4:5]
	v_div_fixup_f32 v6, v6, v47, v0
	v_cndmask_b32_e64 v1, v1, v7, s1
	v_add_co_u32 v4, vcc_lo, s24, v4
	v_add_co_ci_u32_e64 v5, null, s25, v5, vcc_lo
	v_cndmask_b32_e64 v0, v0, v6, s1
	global_store_dword v[4:5], v1, off
	global_store_dword v[4:5], v0, off offset:512
.LBB28_46:
	v_mov_b32_e32 v117, v3
	v_mov_b32_e32 v116, v2
.LBB28_47:
	v_or_b32_e32 v0, s35, v41
	v_cmp_gt_u32_e32 vcc_lo, 2, v35
	s_waitcnt lgkmcnt(0)
	s_cmp_lg_u32 s3, 1
	s_cselect_b32 s1, -1, 0
	v_cmp_gt_i32_e64 s0, s36, v0
	s_and_b32 s1, s1, vcc_lo
	s_and_b32 s0, s1, s0
	s_and_saveexec_b32 s1, s0
	s_cbranch_execz .LBB28_49
; %bb.48:
	v_mad_u64_u32 v[0:1], null, s33, s36, v[0:1]
	v_cmp_eq_u32_e32 vcc_lo, 1, v35
	v_cndmask_b32_e32 v2, v116, v117, vcc_lo
	v_mad_u64_u32 v[0:1], null, v0, s37, s[38:39]
	v_cndmask_b32_e32 v3, v46, v47, vcc_lo
	v_mad_u64_u32 v[0:1], null, s3, v0, s[34:35]
	v_mov_b32_e32 v1, 0
	v_lshlrev_b64 v[0:1], 3, v[0:1]
	v_add_co_u32 v0, vcc_lo, s26, v0
	v_add_co_ci_u32_e64 v1, null, s27, v1, vcc_lo
	global_store_dwordx2 v[0:1], v[2:3], off
.LBB28_49:
	s_endpgm
	.section	.rodata,"a",@progbits
	.p2align	6, 0x0
	.amdhsa_kernel _ZL18flash_attn_ext_vecILi256ELi2EL9ggml_type7ELS0_8ELb0EEvPKcS2_S2_S2_S2_PKiPfP15HIP_vector_typeIfLj2EEffffjfiS6_IjLj3EEiiiiiiiiiiiliiliiiiil
		.amdhsa_group_segment_fixed_size 6656
		.amdhsa_private_segment_fixed_size 44
		.amdhsa_kernarg_size 464
		.amdhsa_user_sgpr_count 8
		.amdhsa_user_sgpr_private_segment_buffer 1
		.amdhsa_user_sgpr_dispatch_ptr 1
		.amdhsa_user_sgpr_queue_ptr 0
		.amdhsa_user_sgpr_kernarg_segment_ptr 1
		.amdhsa_user_sgpr_dispatch_id 0
		.amdhsa_user_sgpr_flat_scratch_init 0
		.amdhsa_user_sgpr_private_segment_size 0
		.amdhsa_wavefront_size32 1
		.amdhsa_uses_dynamic_stack 0
		.amdhsa_system_sgpr_private_segment_wavefront_offset 1
		.amdhsa_system_sgpr_workgroup_id_x 1
		.amdhsa_system_sgpr_workgroup_id_y 1
		.amdhsa_system_sgpr_workgroup_id_z 1
		.amdhsa_system_sgpr_workgroup_info 0
		.amdhsa_system_vgpr_workitem_id 2
		.amdhsa_next_free_vgpr 256
		.amdhsa_next_free_sgpr 56
		.amdhsa_reserve_vcc 1
		.amdhsa_reserve_flat_scratch 0
		.amdhsa_float_round_mode_32 0
		.amdhsa_float_round_mode_16_64 0
		.amdhsa_float_denorm_mode_32 3
		.amdhsa_float_denorm_mode_16_64 3
		.amdhsa_dx10_clamp 1
		.amdhsa_ieee_mode 1
		.amdhsa_fp16_overflow 0
		.amdhsa_workgroup_processor_mode 1
		.amdhsa_memory_ordered 1
		.amdhsa_forward_progress 1
		.amdhsa_shared_vgpr_count 0
		.amdhsa_exception_fp_ieee_invalid_op 0
		.amdhsa_exception_fp_denorm_src 0
		.amdhsa_exception_fp_ieee_div_zero 0
		.amdhsa_exception_fp_ieee_overflow 0
		.amdhsa_exception_fp_ieee_underflow 0
		.amdhsa_exception_fp_ieee_inexact 0
		.amdhsa_exception_int_div_zero 0
	.end_amdhsa_kernel
	.section	.text._ZL18flash_attn_ext_vecILi256ELi2EL9ggml_type7ELS0_8ELb0EEvPKcS2_S2_S2_S2_PKiPfP15HIP_vector_typeIfLj2EEffffjfiS6_IjLj3EEiiiiiiiiiiiliiliiiiil,"axG",@progbits,_ZL18flash_attn_ext_vecILi256ELi2EL9ggml_type7ELS0_8ELb0EEvPKcS2_S2_S2_S2_PKiPfP15HIP_vector_typeIfLj2EEffffjfiS6_IjLj3EEiiiiiiiiiiiliiliiiiil,comdat
.Lfunc_end28:
	.size	_ZL18flash_attn_ext_vecILi256ELi2EL9ggml_type7ELS0_8ELb0EEvPKcS2_S2_S2_S2_PKiPfP15HIP_vector_typeIfLj2EEffffjfiS6_IjLj3EEiiiiiiiiiiiliiliiiiil, .Lfunc_end28-_ZL18flash_attn_ext_vecILi256ELi2EL9ggml_type7ELS0_8ELb0EEvPKcS2_S2_S2_S2_PKiPfP15HIP_vector_typeIfLj2EEffffjfiS6_IjLj3EEiiiiiiiiiiiliiliiiiil
                                        ; -- End function
	.set _ZL18flash_attn_ext_vecILi256ELi2EL9ggml_type7ELS0_8ELb0EEvPKcS2_S2_S2_S2_PKiPfP15HIP_vector_typeIfLj2EEffffjfiS6_IjLj3EEiiiiiiiiiiiliiliiiiil.num_vgpr, 256
	.set _ZL18flash_attn_ext_vecILi256ELi2EL9ggml_type7ELS0_8ELb0EEvPKcS2_S2_S2_S2_PKiPfP15HIP_vector_typeIfLj2EEffffjfiS6_IjLj3EEiiiiiiiiiiiliiliiiiil.num_agpr, 0
	.set _ZL18flash_attn_ext_vecILi256ELi2EL9ggml_type7ELS0_8ELb0EEvPKcS2_S2_S2_S2_PKiPfP15HIP_vector_typeIfLj2EEffffjfiS6_IjLj3EEiiiiiiiiiiiliiliiiiil.numbered_sgpr, 56
	.set _ZL18flash_attn_ext_vecILi256ELi2EL9ggml_type7ELS0_8ELb0EEvPKcS2_S2_S2_S2_PKiPfP15HIP_vector_typeIfLj2EEffffjfiS6_IjLj3EEiiiiiiiiiiiliiliiiiil.num_named_barrier, 0
	.set _ZL18flash_attn_ext_vecILi256ELi2EL9ggml_type7ELS0_8ELb0EEvPKcS2_S2_S2_S2_PKiPfP15HIP_vector_typeIfLj2EEffffjfiS6_IjLj3EEiiiiiiiiiiiliiliiiiil.private_seg_size, 44
	.set _ZL18flash_attn_ext_vecILi256ELi2EL9ggml_type7ELS0_8ELb0EEvPKcS2_S2_S2_S2_PKiPfP15HIP_vector_typeIfLj2EEffffjfiS6_IjLj3EEiiiiiiiiiiiliiliiiiil.uses_vcc, 1
	.set _ZL18flash_attn_ext_vecILi256ELi2EL9ggml_type7ELS0_8ELb0EEvPKcS2_S2_S2_S2_PKiPfP15HIP_vector_typeIfLj2EEffffjfiS6_IjLj3EEiiiiiiiiiiiliiliiiiil.uses_flat_scratch, 0
	.set _ZL18flash_attn_ext_vecILi256ELi2EL9ggml_type7ELS0_8ELb0EEvPKcS2_S2_S2_S2_PKiPfP15HIP_vector_typeIfLj2EEffffjfiS6_IjLj3EEiiiiiiiiiiiliiliiiiil.has_dyn_sized_stack, 0
	.set _ZL18flash_attn_ext_vecILi256ELi2EL9ggml_type7ELS0_8ELb0EEvPKcS2_S2_S2_S2_PKiPfP15HIP_vector_typeIfLj2EEffffjfiS6_IjLj3EEiiiiiiiiiiiliiliiiiil.has_recursion, 0
	.set _ZL18flash_attn_ext_vecILi256ELi2EL9ggml_type7ELS0_8ELb0EEvPKcS2_S2_S2_S2_PKiPfP15HIP_vector_typeIfLj2EEffffjfiS6_IjLj3EEiiiiiiiiiiiliiliiiiil.has_indirect_call, 0
	.section	.AMDGPU.csdata,"",@progbits
; Kernel info:
; codeLenInByte = 31392
; TotalNumSgprs: 58
; NumVgprs: 256
; ScratchSize: 44
; MemoryBound: 0
; FloatMode: 240
; IeeeMode: 1
; LDSByteSize: 6656 bytes/workgroup (compile time only)
; SGPRBlocks: 0
; VGPRBlocks: 31
; NumSGPRsForWavesPerEU: 58
; NumVGPRsForWavesPerEU: 256
; Occupancy: 4
; WaveLimiterHint : 0
; COMPUTE_PGM_RSRC2:SCRATCH_EN: 1
; COMPUTE_PGM_RSRC2:USER_SGPR: 8
; COMPUTE_PGM_RSRC2:TRAP_HANDLER: 0
; COMPUTE_PGM_RSRC2:TGID_X_EN: 1
; COMPUTE_PGM_RSRC2:TGID_Y_EN: 1
; COMPUTE_PGM_RSRC2:TGID_Z_EN: 1
; COMPUTE_PGM_RSRC2:TIDIG_COMP_CNT: 2
	.section	.text._ZL33flash_attn_stream_k_fixup_uniformILi256ELi2ELi1EEvPfPK15HIP_vector_typeIfLj2EEiiiiiiS1_IjLj3EES5_S5_,"axG",@progbits,_ZL33flash_attn_stream_k_fixup_uniformILi256ELi2ELi1EEvPfPK15HIP_vector_typeIfLj2EEiiiiiiS1_IjLj3EES5_S5_,comdat
	.globl	_ZL33flash_attn_stream_k_fixup_uniformILi256ELi2ELi1EEvPfPK15HIP_vector_typeIfLj2EEiiiiiiS1_IjLj3EES5_S5_ ; -- Begin function _ZL33flash_attn_stream_k_fixup_uniformILi256ELi2ELi1EEvPfPK15HIP_vector_typeIfLj2EEiiiiiiS1_IjLj3EES5_S5_
	.p2align	8
	.type	_ZL33flash_attn_stream_k_fixup_uniformILi256ELi2ELi1EEvPfPK15HIP_vector_typeIfLj2EEiiiiiiS1_IjLj3EES5_S5_,@function
_ZL33flash_attn_stream_k_fixup_uniformILi256ELi2ELi1EEvPfPK15HIP_vector_typeIfLj2EEiiiiiiS1_IjLj3EES5_S5_: ; @_ZL33flash_attn_stream_k_fixup_uniformILi256ELi2ELi1EEvPfPK15HIP_vector_typeIfLj2EEiiiiiiS1_IjLj3EES5_S5_
; %bb.0:
	s_clause 0x2
	s_load_dwordx8 s[12:19], s[4:5], 0x1c
	s_load_dwordx4 s[20:23], s[4:5], 0x3c
	s_load_dwordx2 s[10:11], s[4:5], 0x10
	s_waitcnt lgkmcnt(0)
	s_mul_hi_u32 s0, s15, s6
	s_add_i32 s0, s6, s0
	s_lshr_b32 s0, s0, s16
	s_mul_i32 s1, s0, s17
	s_sub_i32 s2, s6, s1
	s_mul_hi_u32 s1, s2, s18
	s_add_i32 s1, s2, s1
	s_lshr_b32 s1, s1, s19
	s_mul_i32 s3, s1, s20
	s_sub_i32 s2, s2, s3
	;; [unrolled: 5-line block ×3, first 2 shown]
	s_lshl_b32 s2, s15, 1
	s_add_i32 s2, s2, s7
	s_cmp_lt_i32 s2, s10
	s_cselect_b32 s2, -1, 0
	s_add_i32 s3, s9, s8
	s_cmp_lt_i32 s3, s13
	s_cselect_b32 s3, -1, 0
	s_and_b32 s2, s2, s3
	s_andn2_b32 vcc_lo, exec_lo, s2
	s_cbranch_vccnz .LBB29_6
; %bb.1:
	s_mul_i32 s0, s0, s10
	s_mul_i32 s10, s1, s13
	s_add_i32 s0, s0, s7
	s_mul_i32 s0, s0, s11
	s_add_i32 s13, s0, s8
	s_load_dwordx4 s[0:3], s[4:5], 0x0
	s_add_i32 s4, s13, s10
	s_mul_i32 s5, s11, s15
	s_add_i32 s4, s4, s9
	s_lshl_b32 s5, s5, 9
	s_lshl_b32 s4, s4, 8
	s_add_i32 s8, s7, s8
	s_add_i32 s5, s5, s4
	s_mul_i32 s4, s14, s6
	v_or_b32_e32 v1, s5, v0
	s_add_i32 s9, s4, s14
	v_ashrrev_i32_e32 v2, 31, v1
	v_lshlrev_b64 v[1:2], 2, v[1:2]
	s_waitcnt lgkmcnt(0)
	v_add_co_u32 v1, vcc_lo, s0, v1
	v_add_co_ci_u32_e64 v2, null, s1, v2, vcc_lo
	s_lshl_b32 s0, s9, 1
	s_add_i32 s0, s8, s0
	global_load_dword v5, v[1:2], off
	s_add_i32 s0, s0, -2
	s_ashr_i32 s1, s0, 31
	s_lshl_b64 s[0:1], s[0:1], 3
	s_add_u32 s0, s2, s0
	s_addc_u32 s1, s3, s1
	s_add_i32 s5, s9, -2
	s_load_dword s10, s[0:1], 0x4
	s_cmp_lt_i32 s5, s4
	s_cbranch_scc1 .LBB29_4
; %bb.2:
	s_lshl_b32 s16, s12, 3
	s_load_dword s11, s[0:1], 0x0
	s_ashr_i32 s17, s16, 31
	s_waitcnt lgkmcnt(0)
	v_mov_b32_e32 v6, s10
	s_lshl_b64 s[0:1], s[16:17], 2
	s_add_u32 s5, s2, s0
	s_addc_u32 s7, s3, s1
	s_add_i32 s6, s6, 1
	s_lshl_b32 s1, s8, 8
	s_mul_i32 s0, s14, s6
	s_lshl_b32 s6, s0, 9
	s_lshl_b32 s0, s0, 1
	s_add_i32 s1, s1, s6
	s_add_i32 s0, s8, s0
	v_or_b32_e32 v0, s1, v0
	s_lshl_b32 s1, s12, 1
	s_add_i32 s6, s9, -1
	s_add_i32 s0, s0, s1
	v_add_nc_u32_e32 v3, 0xfffffc00, v0
	v_mov_b32_e32 v0, s11
	s_add_i32 s0, s0, -4
.LBB29_3:                               ; =>This Inner Loop Header: Depth=1
	v_ashrrev_i32_e32 v4, 31, v3
	s_ashr_i32 s1, s0, 31
	s_lshl_b64 s[8:9], s[0:1], 3
	s_add_u32 s8, s2, s8
	v_lshlrev_b64 v[7:8], 2, v[3:4]
	s_addc_u32 s9, s3, s9
	v_add_nc_u32_e32 v3, 0xfffffe00, v3
	s_add_i32 s6, s6, -1
	s_add_i32 s0, s0, -2
	s_cmp_le_i32 s6, s4
	v_add_co_u32 v7, vcc_lo, s5, v7
	v_add_co_ci_u32_e64 v8, null, s7, v8, vcc_lo
	s_load_dwordx2 s[8:9], s[8:9], 0x0
	global_load_dword v4, v[7:8], off
	v_max_f32_e32 v7, v0, v0
	s_waitcnt lgkmcnt(0)
	v_max_f32_e64 v8, s8, s8
	v_max_f32_e32 v7, v7, v8
	v_sub_f32_e32 v8, s8, v7
	v_sub_f32_e32 v0, v0, v7
	v_mul_f32_e32 v9, 0x3fb8aa3b, v8
	v_mul_f32_e32 v12, 0x3fb8aa3b, v0
	v_cmp_ngt_f32_e32 vcc_lo, 0xc2ce8ed0, v8
	v_fma_f32 v10, 0x3fb8aa3b, v8, -v9
	v_rndne_f32_e32 v11, v9
	v_fma_f32 v13, 0x3fb8aa3b, v0, -v12
	v_rndne_f32_e32 v14, v12
	v_fmac_f32_e32 v10, 0x32a5705f, v8
	v_sub_f32_e32 v9, v9, v11
	v_fmac_f32_e32 v13, 0x32a5705f, v0
	v_cvt_i32_f32_e32 v11, v11
	v_add_f32_e32 v9, v9, v10
	v_sub_f32_e32 v10, v12, v14
	v_exp_f32_e32 v9, v9
	v_add_f32_e32 v10, v10, v13
	v_exp_f32_e32 v10, v10
	v_ldexp_f32 v9, v9, v11
	v_cvt_i32_f32_e32 v11, v14
	v_cndmask_b32_e32 v9, 0, v9, vcc_lo
	v_cmp_nlt_f32_e32 vcc_lo, 0x42b17218, v8
	v_ldexp_f32 v10, v10, v11
	v_mov_b32_e32 v11, v6
	v_cndmask_b32_e32 v9, 0x7f800000, v9, vcc_lo
	v_cmp_ngt_f32_e32 vcc_lo, 0xc2ce8ed0, v0
	v_cndmask_b32_e32 v10, 0, v10, vcc_lo
	v_cmp_le_f32_e32 vcc_lo, 0xc1a00000, v8
	v_cndmask_b32_e32 v8, 0, v9, vcc_lo
	v_cmp_nlt_f32_e32 vcc_lo, 0x42b17218, v0
	s_waitcnt vmcnt(1)
	v_mov_b32_e32 v9, v5
	v_cndmask_b32_e32 v5, 0x7f800000, v10, vcc_lo
	v_mul_f32_e32 v10, s9, v8
	v_cmp_le_f32_e32 vcc_lo, 0xc1a00000, v0
	v_mov_b32_e32 v0, v7
	v_mov_b32_e32 v6, v10
	v_cndmask_b32_e32 v12, 0, v5, vcc_lo
	v_fmac_f32_e32 v6, v11, v12
	s_waitcnt vmcnt(0)
	v_mul_f32_e32 v5, v4, v8
	v_fmac_f32_e32 v5, v9, v12
	s_cbranch_scc0 .LBB29_3
	s_branch .LBB29_5
.LBB29_4:
	s_waitcnt lgkmcnt(0)
	v_mov_b32_e32 v6, s10
.LBB29_5:
	s_waitcnt vmcnt(0)
	v_div_scale_f32 v0, null, v6, v6, v5
	v_rcp_f32_e32 v3, v0
	v_fma_f32 v4, -v0, v3, 1.0
	v_fmac_f32_e32 v3, v4, v3
	v_div_scale_f32 v4, vcc_lo, v5, v6, v5
	v_mul_f32_e32 v7, v4, v3
	v_fma_f32 v8, -v0, v7, v4
	v_fmac_f32_e32 v7, v8, v3
	v_fma_f32 v0, -v0, v7, v4
	v_div_fmas_f32 v0, v0, v3, v7
	v_div_fixup_f32 v0, v0, v6, v5
	global_store_dword v[1:2], v0, off
.LBB29_6:
	s_endpgm
	.section	.rodata,"a",@progbits
	.p2align	6, 0x0
	.amdhsa_kernel _ZL33flash_attn_stream_k_fixup_uniformILi256ELi2ELi1EEvPfPK15HIP_vector_typeIfLj2EEiiiiiiS1_IjLj3EES5_S5_
		.amdhsa_group_segment_fixed_size 0
		.amdhsa_private_segment_fixed_size 0
		.amdhsa_kernarg_size 76
		.amdhsa_user_sgpr_count 6
		.amdhsa_user_sgpr_private_segment_buffer 1
		.amdhsa_user_sgpr_dispatch_ptr 0
		.amdhsa_user_sgpr_queue_ptr 0
		.amdhsa_user_sgpr_kernarg_segment_ptr 1
		.amdhsa_user_sgpr_dispatch_id 0
		.amdhsa_user_sgpr_flat_scratch_init 0
		.amdhsa_user_sgpr_private_segment_size 0
		.amdhsa_wavefront_size32 1
		.amdhsa_uses_dynamic_stack 0
		.amdhsa_system_sgpr_private_segment_wavefront_offset 0
		.amdhsa_system_sgpr_workgroup_id_x 1
		.amdhsa_system_sgpr_workgroup_id_y 1
		.amdhsa_system_sgpr_workgroup_id_z 1
		.amdhsa_system_sgpr_workgroup_info 0
		.amdhsa_system_vgpr_workitem_id 0
		.amdhsa_next_free_vgpr 15
		.amdhsa_next_free_sgpr 24
		.amdhsa_reserve_vcc 1
		.amdhsa_reserve_flat_scratch 0
		.amdhsa_float_round_mode_32 0
		.amdhsa_float_round_mode_16_64 0
		.amdhsa_float_denorm_mode_32 3
		.amdhsa_float_denorm_mode_16_64 3
		.amdhsa_dx10_clamp 1
		.amdhsa_ieee_mode 1
		.amdhsa_fp16_overflow 0
		.amdhsa_workgroup_processor_mode 1
		.amdhsa_memory_ordered 1
		.amdhsa_forward_progress 1
		.amdhsa_shared_vgpr_count 0
		.amdhsa_exception_fp_ieee_invalid_op 0
		.amdhsa_exception_fp_denorm_src 0
		.amdhsa_exception_fp_ieee_div_zero 0
		.amdhsa_exception_fp_ieee_overflow 0
		.amdhsa_exception_fp_ieee_underflow 0
		.amdhsa_exception_fp_ieee_inexact 0
		.amdhsa_exception_int_div_zero 0
	.end_amdhsa_kernel
	.section	.text._ZL33flash_attn_stream_k_fixup_uniformILi256ELi2ELi1EEvPfPK15HIP_vector_typeIfLj2EEiiiiiiS1_IjLj3EES5_S5_,"axG",@progbits,_ZL33flash_attn_stream_k_fixup_uniformILi256ELi2ELi1EEvPfPK15HIP_vector_typeIfLj2EEiiiiiiS1_IjLj3EES5_S5_,comdat
.Lfunc_end29:
	.size	_ZL33flash_attn_stream_k_fixup_uniformILi256ELi2ELi1EEvPfPK15HIP_vector_typeIfLj2EEiiiiiiS1_IjLj3EES5_S5_, .Lfunc_end29-_ZL33flash_attn_stream_k_fixup_uniformILi256ELi2ELi1EEvPfPK15HIP_vector_typeIfLj2EEiiiiiiS1_IjLj3EES5_S5_
                                        ; -- End function
	.set _ZL33flash_attn_stream_k_fixup_uniformILi256ELi2ELi1EEvPfPK15HIP_vector_typeIfLj2EEiiiiiiS1_IjLj3EES5_S5_.num_vgpr, 15
	.set _ZL33flash_attn_stream_k_fixup_uniformILi256ELi2ELi1EEvPfPK15HIP_vector_typeIfLj2EEiiiiiiS1_IjLj3EES5_S5_.num_agpr, 0
	.set _ZL33flash_attn_stream_k_fixup_uniformILi256ELi2ELi1EEvPfPK15HIP_vector_typeIfLj2EEiiiiiiS1_IjLj3EES5_S5_.numbered_sgpr, 24
	.set _ZL33flash_attn_stream_k_fixup_uniformILi256ELi2ELi1EEvPfPK15HIP_vector_typeIfLj2EEiiiiiiS1_IjLj3EES5_S5_.num_named_barrier, 0
	.set _ZL33flash_attn_stream_k_fixup_uniformILi256ELi2ELi1EEvPfPK15HIP_vector_typeIfLj2EEiiiiiiS1_IjLj3EES5_S5_.private_seg_size, 0
	.set _ZL33flash_attn_stream_k_fixup_uniformILi256ELi2ELi1EEvPfPK15HIP_vector_typeIfLj2EEiiiiiiS1_IjLj3EES5_S5_.uses_vcc, 1
	.set _ZL33flash_attn_stream_k_fixup_uniformILi256ELi2ELi1EEvPfPK15HIP_vector_typeIfLj2EEiiiiiiS1_IjLj3EES5_S5_.uses_flat_scratch, 0
	.set _ZL33flash_attn_stream_k_fixup_uniformILi256ELi2ELi1EEvPfPK15HIP_vector_typeIfLj2EEiiiiiiS1_IjLj3EES5_S5_.has_dyn_sized_stack, 0
	.set _ZL33flash_attn_stream_k_fixup_uniformILi256ELi2ELi1EEvPfPK15HIP_vector_typeIfLj2EEiiiiiiS1_IjLj3EES5_S5_.has_recursion, 0
	.set _ZL33flash_attn_stream_k_fixup_uniformILi256ELi2ELi1EEvPfPK15HIP_vector_typeIfLj2EEiiiiiiS1_IjLj3EES5_S5_.has_indirect_call, 0
	.section	.AMDGPU.csdata,"",@progbits
; Kernel info:
; codeLenInByte = 828
; TotalNumSgprs: 26
; NumVgprs: 15
; ScratchSize: 0
; MemoryBound: 0
; FloatMode: 240
; IeeeMode: 1
; LDSByteSize: 0 bytes/workgroup (compile time only)
; SGPRBlocks: 0
; VGPRBlocks: 1
; NumSGPRsForWavesPerEU: 26
; NumVGPRsForWavesPerEU: 15
; Occupancy: 16
; WaveLimiterHint : 0
; COMPUTE_PGM_RSRC2:SCRATCH_EN: 0
; COMPUTE_PGM_RSRC2:USER_SGPR: 6
; COMPUTE_PGM_RSRC2:TRAP_HANDLER: 0
; COMPUTE_PGM_RSRC2:TGID_X_EN: 1
; COMPUTE_PGM_RSRC2:TGID_Y_EN: 1
; COMPUTE_PGM_RSRC2:TGID_Z_EN: 1
; COMPUTE_PGM_RSRC2:TIDIG_COMP_CNT: 0
	.section	.text._ZL33flash_attn_stream_k_fixup_generalILi256ELi2ELi1EEvPfPK15HIP_vector_typeIfLj2EEiiiiS1_IjLj3EES5_S5_S5_,"axG",@progbits,_ZL33flash_attn_stream_k_fixup_generalILi256ELi2ELi1EEvPfPK15HIP_vector_typeIfLj2EEiiiiS1_IjLj3EES5_S5_S5_,comdat
	.globl	_ZL33flash_attn_stream_k_fixup_generalILi256ELi2ELi1EEvPfPK15HIP_vector_typeIfLj2EEiiiiS1_IjLj3EES5_S5_S5_ ; -- Begin function _ZL33flash_attn_stream_k_fixup_generalILi256ELi2ELi1EEvPfPK15HIP_vector_typeIfLj2EEiiiiS1_IjLj3EES5_S5_S5_
	.p2align	8
	.type	_ZL33flash_attn_stream_k_fixup_generalILi256ELi2ELi1EEvPfPK15HIP_vector_typeIfLj2EEiiiiS1_IjLj3EES5_S5_S5_,@function
_ZL33flash_attn_stream_k_fixup_generalILi256ELi2ELi1EEvPfPK15HIP_vector_typeIfLj2EEiiiiS1_IjLj3EES5_S5_S5_: ; @_ZL33flash_attn_stream_k_fixup_generalILi256ELi2ELi1EEvPfPK15HIP_vector_typeIfLj2EEiiiiS1_IjLj3EES5_S5_S5_
; %bb.0:
	s_clause 0x1
	s_load_dwordx4 s[0:3], s[4:5], 0x10
	s_load_dword s9, s[4:5], 0x50
	s_mov_b32 s16, 0
	s_waitcnt lgkmcnt(0)
	s_mul_hi_i32 s17, s3, s6
	s_mul_i32 s18, s3, s6
	s_cmp_lg_u64 s[16:17], 0
	s_cbranch_scc0 .LBB30_21
; %bb.1:
	s_add_u32 s10, s9, 0
	s_addc_u32 s11, 0, 0
	s_xor_b64 s[10:11], s[10:11], 0
	v_cvt_f32_u32_e32 v1, s10
	v_cvt_f32_u32_e32 v2, s11
	s_sub_u32 s14, 0, s10
	s_subb_u32 s15, 0, s11
	v_fmamk_f32 v1, v2, 0x4f800000, v1
	v_rcp_f32_e32 v1, v1
	v_mul_f32_e32 v1, 0x5f7ffffc, v1
	v_mul_f32_e32 v2, 0x2f800000, v1
	v_trunc_f32_e32 v2, v2
	v_fmamk_f32 v1, v2, 0xcf800000, v1
	v_cvt_u32_f32_e32 v2, v2
	v_cvt_u32_f32_e32 v1, v1
	v_readfirstlane_b32 s12, v2
	v_readfirstlane_b32 s13, v1
	s_mul_i32 s19, s14, s12
	s_mul_hi_u32 s21, s14, s13
	s_mul_i32 s20, s15, s13
	s_add_i32 s19, s21, s19
	s_mul_i32 s22, s14, s13
	s_add_i32 s19, s19, s20
	s_mul_hi_u32 s21, s13, s22
	s_mul_i32 s24, s13, s19
	s_mul_hi_u32 s23, s12, s22
	s_mul_i32 s20, s12, s22
	s_mul_hi_u32 s22, s13, s19
	s_add_u32 s21, s21, s24
	s_addc_u32 s22, 0, s22
	s_mul_hi_u32 s25, s12, s19
	s_add_u32 s20, s21, s20
	s_mul_i32 s19, s12, s19
	s_addc_u32 s20, s22, s23
	s_addc_u32 s21, s25, 0
	s_add_u32 s19, s20, s19
	s_addc_u32 s20, 0, s21
	s_add_u32 s13, s13, s19
	s_cselect_b32 s19, -1, 0
	s_mul_hi_u32 s21, s14, s13
	s_cmp_lg_u32 s19, 0
	s_mul_i32 s19, s14, s13
	s_addc_u32 s12, s12, s20
	s_mul_i32 s15, s15, s13
	s_mul_i32 s14, s14, s12
	s_mul_hi_u32 s20, s13, s19
	s_add_i32 s14, s21, s14
	s_mul_hi_u32 s21, s12, s19
	s_add_i32 s14, s14, s15
	s_mul_i32 s15, s12, s19
	s_mul_i32 s23, s13, s14
	s_mul_hi_u32 s22, s13, s14
	s_add_u32 s20, s20, s23
	s_addc_u32 s22, 0, s22
	s_mul_hi_u32 s19, s12, s14
	s_add_u32 s15, s20, s15
	s_mul_i32 s14, s12, s14
	s_addc_u32 s15, s22, s21
	s_addc_u32 s19, s19, 0
	s_add_u32 s14, s15, s14
	s_addc_u32 s15, 0, s19
	s_add_u32 s19, s13, s14
	s_cselect_b32 s13, -1, 0
	s_cmp_lg_u32 s13, 0
	s_addc_u32 s20, s12, s15
	s_ashr_i32 s12, s17, 31
	s_add_u32 s14, s18, s12
	s_mov_b32 s13, s12
	s_addc_u32 s15, s17, s12
	s_xor_b64 s[14:15], s[14:15], s[12:13]
	s_mul_i32 s21, s14, s20
	s_mul_hi_u32 s22, s14, s19
	s_mul_hi_u32 s17, s14, s20
	;; [unrolled: 1-line block ×3, first 2 shown]
	s_mul_i32 s19, s15, s19
	s_add_u32 s21, s22, s21
	s_addc_u32 s17, 0, s17
	s_mul_hi_u32 s23, s15, s20
	s_add_u32 s19, s21, s19
	s_mul_i32 s20, s15, s20
	s_addc_u32 s17, s17, s24
	s_addc_u32 s19, s23, 0
	s_add_u32 s17, s17, s20
	s_addc_u32 s19, 0, s19
	s_mul_hi_u32 s20, s10, s17
	s_mul_i32 s21, s10, s19
	s_mul_i32 s22, s11, s17
	s_add_i32 s20, s20, s21
	s_mul_i32 s21, s10, s17
	s_add_i32 s20, s20, s22
	s_sub_i32 s22, s15, s20
	s_sub_u32 s14, s14, s21
	s_cselect_b32 s21, -1, 0
	s_cmp_lg_u32 s21, 0
	s_subb_u32 s22, s22, s11
	s_sub_u32 s23, s14, s10
	s_cselect_b32 s24, -1, 0
	s_cmp_lg_u32 s24, 0
	s_subb_u32 s22, s22, 0
	s_cmp_ge_u32 s22, s11
	s_cselect_b32 s24, -1, 0
	s_cmp_ge_u32 s23, s10
	s_cselect_b32 s23, -1, 0
	s_cmp_eq_u32 s22, s11
	s_cselect_b32 s22, s23, s24
	s_add_u32 s23, s17, 1
	s_addc_u32 s24, s19, 0
	s_add_u32 s25, s17, 2
	s_addc_u32 s26, s19, 0
	s_cmp_lg_u32 s22, 0
	s_cselect_b32 s22, s25, s23
	s_cselect_b32 s23, s26, s24
	s_cmp_lg_u32 s21, 0
	s_subb_u32 s15, s15, s20
	s_cmp_ge_u32 s15, s11
	s_cselect_b32 s20, -1, 0
	s_cmp_ge_u32 s14, s10
	s_cselect_b32 s10, -1, 0
	s_cmp_eq_u32 s15, s11
	s_cselect_b32 s10, s10, s20
	s_cmp_lg_u32 s10, 0
	s_cselect_b32 s11, s23, s19
	s_cselect_b32 s10, s22, s17
	s_xor_b64 s[12:13], s[12:13], 0
	s_xor_b64 s[10:11], s[10:11], s[12:13]
	s_sub_u32 s10, s10, s12
	s_load_dwordx4 s[12:15], s[4:5], 0x44
	s_andn2_b32 vcc_lo, exec_lo, s16
	s_cbranch_vccnz .LBB30_3
.LBB30_2:
	v_cvt_f32_u32_e32 v1, s9
	s_sub_i32 s11, 0, s9
	v_rcp_iflag_f32_e32 v1, v1
	v_mul_f32_e32 v1, 0x4f7ffffe, v1
	v_cvt_u32_f32_e32 v1, v1
	v_readfirstlane_b32 s10, v1
	s_mul_i32 s11, s11, s10
	s_mul_hi_u32 s11, s10, s11
	s_add_i32 s10, s10, s11
	s_mul_hi_u32 s10, s18, s10
	s_mul_i32 s11, s10, s9
	s_waitcnt lgkmcnt(0)
	s_add_i32 s15, s10, 1
	s_sub_i32 s11, s18, s11
	s_sub_i32 s16, s11, s9
	s_cmp_ge_u32 s11, s9
	s_cselect_b32 s10, s15, s10
	s_cselect_b32 s11, s16, s11
	s_add_i32 s15, s10, 1
	s_cmp_ge_u32 s11, s9
	s_cselect_b32 s10, s15, s10
.LBB30_3:
	s_add_i32 s11, s6, 1
	s_mov_b32 s16, 0
	s_mul_hi_i32 s17, s3, s11
	s_mul_i32 s11, s3, s11
	s_cmp_lg_u64 s[16:17], 0
	s_cbranch_scc0 .LBB30_22
; %bb.4:
	s_add_u32 s18, s9, 0
	s_addc_u32 s19, 0, 0
	s_xor_b64 s[18:19], s[18:19], 0
	v_cvt_f32_u32_e32 v1, s18
	v_cvt_f32_u32_e32 v2, s19
	s_sub_u32 s21, 0, s18
	s_subb_u32 s22, 0, s19
	v_fmamk_f32 v1, v2, 0x4f800000, v1
	v_rcp_f32_e32 v1, v1
	v_mul_f32_e32 v1, 0x5f7ffffc, v1
	v_mul_f32_e32 v2, 0x2f800000, v1
	v_trunc_f32_e32 v2, v2
	v_fmamk_f32 v1, v2, 0xcf800000, v1
	v_cvt_u32_f32_e32 v2, v2
	v_cvt_u32_f32_e32 v1, v1
	s_waitcnt lgkmcnt(0)
	v_readfirstlane_b32 s15, v2
	v_readfirstlane_b32 s20, v1
	s_mul_i32 s23, s21, s15
	s_mul_hi_u32 s25, s21, s20
	s_mul_i32 s24, s22, s20
	s_add_i32 s23, s25, s23
	s_mul_i32 s26, s21, s20
	s_add_i32 s23, s23, s24
	s_mul_hi_u32 s25, s20, s26
	s_mul_i32 s28, s20, s23
	s_mul_hi_u32 s27, s15, s26
	s_mul_i32 s24, s15, s26
	s_mul_hi_u32 s26, s20, s23
	s_add_u32 s25, s25, s28
	s_addc_u32 s26, 0, s26
	s_mul_hi_u32 s29, s15, s23
	s_add_u32 s24, s25, s24
	s_mul_i32 s23, s15, s23
	s_addc_u32 s24, s26, s27
	s_addc_u32 s25, s29, 0
	s_add_u32 s23, s24, s23
	s_addc_u32 s24, 0, s25
	s_add_u32 s20, s20, s23
	s_cselect_b32 s23, -1, 0
	s_mul_hi_u32 s25, s21, s20
	s_cmp_lg_u32 s23, 0
	s_mul_i32 s23, s21, s20
	s_addc_u32 s15, s15, s24
	s_mul_i32 s22, s22, s20
	s_mul_i32 s21, s21, s15
	s_mul_hi_u32 s24, s20, s23
	s_add_i32 s21, s25, s21
	s_mul_hi_u32 s25, s15, s23
	s_add_i32 s21, s21, s22
	s_mul_i32 s22, s15, s23
	s_mul_i32 s27, s20, s21
	s_mul_hi_u32 s26, s20, s21
	s_add_u32 s24, s24, s27
	s_addc_u32 s26, 0, s26
	s_mul_hi_u32 s23, s15, s21
	s_add_u32 s22, s24, s22
	s_mul_i32 s21, s15, s21
	s_addc_u32 s22, s26, s25
	s_addc_u32 s23, s23, 0
	s_add_u32 s21, s22, s21
	s_addc_u32 s22, 0, s23
	s_add_u32 s24, s20, s21
	s_cselect_b32 s20, -1, 0
	s_cmp_lg_u32 s20, 0
	s_addc_u32 s15, s15, s22
	s_ashr_i32 s20, s17, 31
	s_add_u32 s22, s11, s20
	s_mov_b32 s21, s20
	s_addc_u32 s23, s17, s20
	s_xor_b64 s[22:23], s[22:23], s[20:21]
	s_mul_i32 s25, s22, s15
	s_mul_hi_u32 s26, s22, s24
	s_mul_hi_u32 s17, s22, s15
	;; [unrolled: 1-line block ×3, first 2 shown]
	s_mul_i32 s24, s23, s24
	s_add_u32 s25, s26, s25
	s_addc_u32 s17, 0, s17
	s_mul_hi_u32 s27, s23, s15
	s_add_u32 s24, s25, s24
	s_mul_i32 s15, s23, s15
	s_addc_u32 s17, s17, s28
	s_addc_u32 s24, s27, 0
	s_add_u32 s15, s17, s15
	s_addc_u32 s17, 0, s24
	s_mul_hi_u32 s24, s18, s15
	s_mul_i32 s25, s18, s17
	s_mul_i32 s26, s19, s15
	s_add_i32 s24, s24, s25
	s_mul_i32 s25, s18, s15
	s_add_i32 s24, s24, s26
	s_sub_i32 s26, s23, s24
	s_sub_u32 s22, s22, s25
	s_cselect_b32 s25, -1, 0
	s_cmp_lg_u32 s25, 0
	s_subb_u32 s26, s26, s19
	s_sub_u32 s27, s22, s18
	s_cselect_b32 s28, -1, 0
	s_cmp_lg_u32 s28, 0
	s_subb_u32 s26, s26, 0
	s_cmp_ge_u32 s26, s19
	s_cselect_b32 s28, -1, 0
	s_cmp_ge_u32 s27, s18
	s_cselect_b32 s27, -1, 0
	s_cmp_eq_u32 s26, s19
	s_cselect_b32 s26, s27, s28
	s_add_u32 s27, s15, 1
	s_addc_u32 s28, s17, 0
	s_add_u32 s29, s15, 2
	s_addc_u32 s30, s17, 0
	s_cmp_lg_u32 s26, 0
	s_cselect_b32 s26, s29, s27
	s_cselect_b32 s27, s30, s28
	s_cmp_lg_u32 s25, 0
	s_subb_u32 s23, s23, s24
	s_cmp_ge_u32 s23, s19
	s_cselect_b32 s24, -1, 0
	s_cmp_ge_u32 s22, s18
	s_cselect_b32 s18, -1, 0
	s_cmp_eq_u32 s23, s19
	s_cselect_b32 s18, s18, s24
	s_cmp_lg_u32 s18, 0
	s_cselect_b32 s19, s27, s17
	s_cselect_b32 s18, s26, s15
	s_xor_b64 s[20:21], s[20:21], 0
	s_xor_b64 s[18:19], s[18:19], s[20:21]
	s_sub_u32 s18, s18, s20
	s_andn2_b32 vcc_lo, exec_lo, s16
	s_cbranch_vccnz .LBB30_6
.LBB30_5:
	v_cvt_f32_u32_e32 v1, s9
	s_sub_i32 s16, 0, s9
	v_rcp_iflag_f32_e32 v1, v1
	v_mul_f32_e32 v1, 0x4f7ffffe, v1
	v_cvt_u32_f32_e32 v1, v1
	s_waitcnt lgkmcnt(0)
	v_readfirstlane_b32 s15, v1
	s_mul_i32 s16, s16, s15
	s_mul_hi_u32 s16, s15, s16
	s_add_i32 s15, s15, s16
	s_mul_hi_u32 s15, s11, s15
	s_mul_i32 s16, s15, s9
	s_sub_i32 s11, s11, s16
	s_add_i32 s16, s15, 1
	s_sub_i32 s17, s11, s9
	s_cmp_ge_u32 s11, s9
	s_cselect_b32 s15, s16, s15
	s_cselect_b32 s11, s17, s11
	s_add_i32 s16, s15, 1
	s_cmp_ge_u32 s11, s9
	s_cselect_b32 s18, s16, s15
.LBB30_6:
	s_cmp_eq_u32 s10, s18
	s_waitcnt lgkmcnt(0)
	s_mul_hi_u32 s11, s10, s12
	s_cselect_b32 s15, -1, 0
	s_add_i32 s11, s11, s10
	s_lshr_b32 s11, s11, s13
	s_mul_i32 s16, s11, s14
	s_cmp_eq_u32 s16, s10
	s_mul_hi_u32 s16, s18, s12
	s_cselect_b32 s17, -1, 0
	s_add_i32 s16, s16, s18
	s_lshr_b32 s16, s16, s13
	s_cmp_eq_u32 s11, s16
	s_mul_i32 s16, s16, s14
	s_cselect_b32 s19, -1, 0
	s_cmp_lg_u32 s16, s18
	s_cselect_b32 s16, -1, 0
	s_or_b32 s15, s15, s17
	s_and_b32 s16, s19, s16
	s_or_b32 s15, s15, s16
	s_and_b32 vcc_lo, exec_lo, s15
	s_cbranch_vccnz .LBB30_24
; %bb.7:
	s_load_dwordx8 s[20:27], s[4:5], 0x20
	s_waitcnt lgkmcnt(0)
	s_mul_hi_u32 s15, s10, s20
	s_add_i32 s15, s15, s10
	s_lshr_b32 s20, s15, s21
	s_load_dword s15, s[4:5], 0x40
	s_mul_i32 s16, s20, s22
	s_sub_i32 s16, s10, s16
	s_mul_hi_u32 s17, s16, s23
	s_add_i32 s17, s16, s17
	s_lshr_b32 s22, s17, s24
	s_mul_i32 s17, s22, s25
	s_sub_i32 s16, s16, s17
	s_mul_hi_u32 s17, s16, s26
	s_add_i32 s17, s16, s17
	s_lshr_b32 s23, s17, s27
	s_waitcnt lgkmcnt(0)
	s_mul_i32 s15, s23, s15
	s_sub_i32 s15, s16, s15
	s_mul_hi_u32 s16, s15, s12
	s_add_i32 s15, s15, s16
	s_lshr_b32 s24, s15, s13
	s_lshl_b32 s15, s24, 1
	s_add_i32 s15, s15, s7
	s_cmp_lt_i32 s15, s0
	s_cselect_b32 s15, -1, 0
	s_add_i32 s16, s23, s8
	s_cmp_lt_i32 s16, s2
	s_cselect_b32 s16, -1, 0
	s_and_b32 s15, s15, s16
	s_andn2_b32 vcc_lo, exec_lo, s15
	s_cbranch_vccnz .LBB30_24
; %bb.8:
	s_load_dwordx4 s[16:19], s[4:5], 0x0
	s_mov_b32 s4, 0
	s_lshl_b32 s26, s9, 3
	s_mov_b32 s27, s4
	s_add_i32 s15, s7, s8
	s_lshl_b64 s[26:27], s[26:27], 2
	s_mul_i32 s0, s20, s0
	s_mul_i32 s22, s22, s2
	v_cvt_f32_u32_e32 v4, s9
	v_rcp_iflag_f32_e32 v4, v4
	s_waitcnt lgkmcnt(0)
	s_add_u32 s20, s18, s26
	s_addc_u32 s21, s19, s27
	s_add_i32 s0, s0, s7
	v_mul_f32_e32 v4, 0x4f7ffffe, v4
	s_mul_i32 s0, s0, s1
	s_mul_i32 s1, s1, s24
	s_add_i32 s0, s0, s8
	s_lshl_b32 s1, s1, 9
	s_add_i32 s0, s0, s22
	v_cvt_u32_f32_e32 v4, v4
	s_add_i32 s0, s0, s23
	s_lshl_b32 s0, s0, 8
	s_add_i32 s1, s1, s0
	s_lshl_b32 s0, s6, 1
	v_or_b32_e32 v1, s1, v0
	s_add_i32 s0, s0, s15
	v_lshl_or_b32 v0, s15, 8, v0
	s_ashr_i32 s1, s0, 31
	v_ashrrev_i32_e32 v2, 31, v1
	s_lshl_b64 s[0:1], s[0:1], 3
	s_add_u32 s0, s18, s0
	s_addc_u32 s1, s19, s1
	v_lshlrev_b64 v[1:2], 2, v[1:2]
	s_load_dwordx2 s[0:1], s[0:1], 0x0
	s_add_i32 s8, s6, -1
	s_sub_i32 s2, 0, s9
	v_add_co_u32 v1, vcc_lo, s16, v1
	v_add_co_ci_u32_e64 v2, null, s17, v2, vcc_lo
	global_load_dword v3, v[1:2], off
	s_waitcnt lgkmcnt(0)
	v_mov_b32_e32 v5, s1
	v_mov_b32_e32 v6, s0
.LBB30_9:                               ; =>This Inner Loop Header: Depth=1
	s_mul_hi_i32 s5, s8, s3
	s_mul_i32 s6, s8, s3
	s_cmp_lg_u64 s[4:5], 0
	s_mov_b32 s7, -1
                                        ; implicit-def: $sgpr0_sgpr1
	s_cbranch_scc0 .LBB30_11
; %bb.10:                               ;   in Loop: Header=BB30_9 Depth=1
	s_add_u32 s0, s9, 0
	s_addc_u32 s1, 0, 0
	s_xor_b64 s[0:1], s[0:1], 0
	v_cvt_f32_u32_e32 v7, s0
	v_cvt_f32_u32_e32 v8, s1
	s_sub_u32 s17, 0, s0
	s_subb_u32 s22, 0, s1
	v_fmac_f32_e32 v7, 0x4f800000, v8
	v_rcp_f32_e32 v7, v7
	v_mul_f32_e32 v7, 0x5f7ffffc, v7
	v_mul_f32_e32 v8, 0x2f800000, v7
	v_trunc_f32_e32 v8, v8
	v_fmac_f32_e32 v7, 0xcf800000, v8
	v_cvt_u32_f32_e32 v8, v8
	v_cvt_u32_f32_e32 v7, v7
	v_readfirstlane_b32 s7, v8
	v_readfirstlane_b32 s16, v7
	s_mul_i32 s23, s17, s7
	s_mul_hi_u32 s25, s17, s16
	s_mul_i32 s24, s22, s16
	s_add_i32 s23, s25, s23
	s_mul_i32 s26, s17, s16
	s_add_i32 s23, s23, s24
	s_mul_hi_u32 s25, s16, s26
	s_mul_i32 s28, s16, s23
	s_mul_hi_u32 s27, s7, s26
	s_mul_i32 s24, s7, s26
	s_mul_hi_u32 s26, s16, s23
	s_add_u32 s25, s25, s28
	s_addc_u32 s26, 0, s26
	s_mul_hi_u32 s29, s7, s23
	s_add_u32 s24, s25, s24
	s_mul_i32 s23, s7, s23
	s_addc_u32 s24, s26, s27
	s_addc_u32 s25, s29, 0
	s_add_u32 s23, s24, s23
	s_addc_u32 s24, 0, s25
	s_add_u32 s16, s16, s23
	s_cselect_b32 s23, -1, 0
	s_mul_hi_u32 s25, s17, s16
	s_cmp_lg_u32 s23, 0
	s_mul_i32 s23, s17, s16
	s_addc_u32 s7, s7, s24
	s_mul_i32 s22, s22, s16
	s_mul_i32 s17, s17, s7
	s_mul_hi_u32 s24, s16, s23
	s_add_i32 s17, s25, s17
	s_mul_hi_u32 s25, s7, s23
	s_add_i32 s17, s17, s22
	s_mul_i32 s22, s7, s23
	s_mul_i32 s27, s16, s17
	s_mul_hi_u32 s26, s16, s17
	s_add_u32 s24, s24, s27
	s_addc_u32 s26, 0, s26
	s_mul_hi_u32 s23, s7, s17
	s_add_u32 s22, s24, s22
	s_mul_i32 s17, s7, s17
	s_addc_u32 s22, s26, s25
	s_addc_u32 s23, s23, 0
	s_add_u32 s17, s22, s17
	s_addc_u32 s22, 0, s23
	s_add_u32 s24, s16, s17
	s_cselect_b32 s16, -1, 0
	s_cmp_lg_u32 s16, 0
	s_addc_u32 s7, s7, s22
	s_ashr_i32 s16, s5, 31
	s_add_u32 s22, s6, s16
	s_mov_b32 s17, s16
	s_addc_u32 s23, s5, s16
	s_xor_b64 s[22:23], s[22:23], s[16:17]
	s_mul_i32 s25, s22, s7
	s_mul_hi_u32 s26, s22, s24
	s_mul_hi_u32 s5, s22, s7
	;; [unrolled: 1-line block ×3, first 2 shown]
	s_mul_i32 s24, s23, s24
	s_add_u32 s25, s26, s25
	s_addc_u32 s5, 0, s5
	s_mul_hi_u32 s27, s23, s7
	s_add_u32 s24, s25, s24
	s_mul_i32 s7, s23, s7
	s_addc_u32 s5, s5, s28
	s_addc_u32 s24, s27, 0
	s_add_u32 s5, s5, s7
	s_addc_u32 s7, 0, s24
	s_mul_hi_u32 s24, s0, s5
	s_mul_i32 s25, s0, s7
	s_mul_i32 s26, s1, s5
	s_add_i32 s24, s24, s25
	s_mul_i32 s25, s0, s5
	s_add_i32 s24, s24, s26
	s_sub_i32 s26, s23, s24
	s_sub_u32 s22, s22, s25
	s_cselect_b32 s25, -1, 0
	s_cmp_lg_u32 s25, 0
	s_subb_u32 s26, s26, s1
	s_sub_u32 s27, s22, s0
	s_cselect_b32 s28, -1, 0
	s_cmp_lg_u32 s28, 0
	s_subb_u32 s26, s26, 0
	s_cmp_ge_u32 s26, s1
	s_cselect_b32 s28, -1, 0
	s_cmp_ge_u32 s27, s0
	s_cselect_b32 s27, -1, 0
	s_cmp_eq_u32 s26, s1
	s_cselect_b32 s26, s27, s28
	s_add_u32 s27, s5, 1
	s_addc_u32 s28, s7, 0
	s_add_u32 s29, s5, 2
	s_addc_u32 s30, s7, 0
	s_cmp_lg_u32 s26, 0
	s_cselect_b32 s26, s29, s27
	s_cselect_b32 s27, s30, s28
	s_cmp_lg_u32 s25, 0
	s_subb_u32 s23, s23, s24
	s_cmp_ge_u32 s23, s1
	s_cselect_b32 s24, -1, 0
	s_cmp_ge_u32 s22, s0
	s_cselect_b32 s0, -1, 0
	s_cmp_eq_u32 s23, s1
	s_cselect_b32 s0, s0, s24
	s_cmp_lg_u32 s0, 0
	s_cselect_b32 s1, s27, s7
	s_cselect_b32 s0, s26, s5
	s_xor_b64 s[16:17], s[16:17], 0
	s_mov_b32 s7, 0
	s_xor_b64 s[0:1], s[0:1], s[16:17]
	s_sub_u32 s0, s0, s16
.LBB30_11:                              ;   in Loop: Header=BB30_9 Depth=1
	s_andn2_b32 vcc_lo, exec_lo, s7
	s_cbranch_vccnz .LBB30_13
; %bb.12:                               ;   in Loop: Header=BB30_9 Depth=1
	v_readfirstlane_b32 s0, v4
	s_mul_i32 s1, s2, s0
	s_mul_hi_u32 s1, s0, s1
	s_add_i32 s0, s0, s1
	s_mul_hi_u32 s0, s6, s0
	s_mul_i32 s1, s0, s9
	s_add_i32 s5, s0, 1
	s_sub_i32 s1, s6, s1
	s_sub_i32 s6, s1, s9
	s_cmp_ge_u32 s1, s9
	s_cselect_b32 s0, s5, s0
	s_cselect_b32 s1, s6, s1
	s_add_i32 s5, s0, 1
	s_cmp_ge_u32 s1, s9
	s_cselect_b32 s0, s5, s0
.LBB30_13:                              ;   in Loop: Header=BB30_9 Depth=1
	s_cmp_lg_u32 s10, s0
	s_mov_b32 s6, -1
                                        ; implicit-def: $sgpr5
                                        ; implicit-def: $vgpr8
                                        ; implicit-def: $vgpr7
                                        ; implicit-def: $vgpr9
                                        ; implicit-def: $sgpr1
                                        ; implicit-def: $sgpr16
	s_cbranch_scc0 .LBB30_18
; %bb.14:                               ;   in Loop: Header=BB30_9 Depth=1
	s_add_i32 s1, s8, s9
	s_mov_b32 s7, s4
	s_lshl_b32 s1, s1, 1
	s_mov_b32 s16, s10
	s_add_i32 s6, s1, s15
	s_mul_hi_u32 s1, s0, s12
	s_lshl_b64 s[6:7], s[6:7], 3
	s_add_u32 s6, s18, s6
	s_addc_u32 s7, s19, s7
	s_add_i32 s1, s1, s0
	s_lshr_b32 s1, s1, s13
	s_mul_i32 s5, s1, s14
	s_cmp_eq_u32 s5, s0
	s_cselect_b32 s5, -1, 0
	s_cmp_lt_u32 s1, s11
	s_cselect_b32 s1, -1, 0
	s_or_b32 s1, s1, s5
	s_mov_b32 s5, -1
	s_and_b32 vcc_lo, exec_lo, s1
	s_mov_b32 s1, s8
	s_cbranch_vccnz .LBB30_16
; %bb.15:                               ;   in Loop: Header=BB30_9 Depth=1
	s_add_i32 s1, s8, -1
	s_mov_b32 s5, 0
	s_mov_b32 s16, s0
.LBB30_16:                              ;   in Loop: Header=BB30_9 Depth=1
	v_lshl_add_u32 v7, s8, 9, v0
	s_load_dwordx2 s[6:7], s[6:7], 0x0
	v_ashrrev_i32_e32 v8, 31, v7
	v_lshlrev_b64 v[7:8], 2, v[7:8]
	v_add_co_u32 v7, vcc_lo, s20, v7
	v_add_co_ci_u32_e64 v8, null, s21, v8, vcc_lo
	s_waitcnt lgkmcnt(0)
	v_max_f32_e64 v9, s6, s6
	global_load_dword v8, v[7:8], off
	v_max_f32_e32 v7, v6, v6
	v_max_f32_e32 v7, v7, v9
	v_sub_f32_e32 v9, s6, v7
	v_sub_f32_e32 v10, v6, v7
	v_mul_f32_e32 v11, 0x3fb8aa3b, v9
	v_mul_f32_e32 v12, 0x3fb8aa3b, v10
	v_cmp_ngt_f32_e32 vcc_lo, 0xc2ce8ed0, v9
	v_fma_f32 v13, 0x3fb8aa3b, v9, -v11
	v_rndne_f32_e32 v14, v11
	v_fma_f32 v15, 0x3fb8aa3b, v10, -v12
	v_rndne_f32_e32 v16, v12
	v_fmac_f32_e32 v13, 0x32a5705f, v9
	v_sub_f32_e32 v11, v11, v14
	v_fmac_f32_e32 v15, 0x32a5705f, v10
	v_sub_f32_e32 v12, v12, v16
	v_add_f32_e32 v11, v11, v13
	v_cvt_i32_f32_e32 v13, v14
	v_add_f32_e32 v12, v12, v15
	v_cvt_i32_f32_e32 v14, v16
	v_exp_f32_e32 v11, v11
	v_exp_f32_e32 v12, v12
	v_ldexp_f32 v11, v11, v13
	v_ldexp_f32 v12, v12, v14
	v_cndmask_b32_e32 v11, 0, v11, vcc_lo
	v_cmp_ngt_f32_e32 vcc_lo, 0xc2ce8ed0, v10
	v_cndmask_b32_e32 v12, 0, v12, vcc_lo
	v_cmp_nlt_f32_e32 vcc_lo, 0x42b17218, v9
	v_cndmask_b32_e32 v11, 0x7f800000, v11, vcc_lo
	v_cmp_nlt_f32_e32 vcc_lo, 0x42b17218, v10
	v_cndmask_b32_e32 v12, 0x7f800000, v12, vcc_lo
	v_cmp_le_f32_e32 vcc_lo, 0xc1a00000, v9
	v_cndmask_b32_e32 v9, 0, v11, vcc_lo
	v_cmp_le_f32_e32 vcc_lo, 0xc1a00000, v10
	v_cndmask_b32_e32 v10, 0, v12, vcc_lo
	s_waitcnt vmcnt(0)
	v_mul_f32_e32 v8, v8, v9
	v_mul_f32_e32 v9, s7, v9
	v_fmac_f32_e32 v8, v3, v10
	v_fmac_f32_e32 v9, v5, v10
	s_cbranch_execz .LBB30_19
.LBB30_17:                              ;   in Loop: Header=BB30_9 Depth=1
	s_andn2_b32 vcc_lo, exec_lo, s5
	s_cbranch_vccnz .LBB30_20
	s_branch .LBB30_23
.LBB30_18:                              ;   in Loop: Header=BB30_9 Depth=1
	s_andn2_b32 vcc_lo, exec_lo, s6
	s_cbranch_vccnz .LBB30_17
.LBB30_19:                              ;   in Loop: Header=BB30_9 Depth=1
	v_mov_b32_e32 v9, v5
	v_mov_b32_e32 v7, v6
	s_waitcnt vmcnt(0)
	v_mov_b32_e32 v8, v3
	s_add_i32 s1, s8, -1
	s_mov_b32 s16, s10
	s_cbranch_execz .LBB30_23
.LBB30_20:                              ;   in Loop: Header=BB30_9 Depth=1
	v_mov_b32_e32 v5, v9
	v_mov_b32_e32 v6, v7
	s_waitcnt vmcnt(0)
	v_mov_b32_e32 v3, v8
	s_mov_b32 s10, s16
	s_mov_b32 s8, s1
	s_branch .LBB30_9
.LBB30_21:
                                        ; implicit-def: $sgpr10_sgpr11
	s_load_dwordx4 s[12:15], s[4:5], 0x44
	s_branch .LBB30_2
.LBB30_22:
                                        ; implicit-def: $sgpr18_sgpr19
	s_branch .LBB30_5
.LBB30_23:
	v_div_scale_f32 v0, null, v9, v9, v8
	s_waitcnt vmcnt(0)
	v_rcp_f32_e32 v3, v0
	v_fma_f32 v4, -v0, v3, 1.0
	v_fmac_f32_e32 v3, v4, v3
	v_div_scale_f32 v4, vcc_lo, v8, v9, v8
	v_mul_f32_e32 v5, v4, v3
	v_fma_f32 v6, -v0, v5, v4
	v_fmac_f32_e32 v5, v6, v3
	v_fma_f32 v0, -v0, v5, v4
	v_div_fmas_f32 v0, v0, v3, v5
	v_div_fixup_f32 v0, v0, v9, v8
	global_store_dword v[1:2], v0, off
.LBB30_24:
	s_endpgm
	.section	.rodata,"a",@progbits
	.p2align	6, 0x0
	.amdhsa_kernel _ZL33flash_attn_stream_k_fixup_generalILi256ELi2ELi1EEvPfPK15HIP_vector_typeIfLj2EEiiiiS1_IjLj3EES5_S5_S5_
		.amdhsa_group_segment_fixed_size 0
		.amdhsa_private_segment_fixed_size 0
		.amdhsa_kernarg_size 336
		.amdhsa_user_sgpr_count 6
		.amdhsa_user_sgpr_private_segment_buffer 1
		.amdhsa_user_sgpr_dispatch_ptr 0
		.amdhsa_user_sgpr_queue_ptr 0
		.amdhsa_user_sgpr_kernarg_segment_ptr 1
		.amdhsa_user_sgpr_dispatch_id 0
		.amdhsa_user_sgpr_flat_scratch_init 0
		.amdhsa_user_sgpr_private_segment_size 0
		.amdhsa_wavefront_size32 1
		.amdhsa_uses_dynamic_stack 0
		.amdhsa_system_sgpr_private_segment_wavefront_offset 0
		.amdhsa_system_sgpr_workgroup_id_x 1
		.amdhsa_system_sgpr_workgroup_id_y 1
		.amdhsa_system_sgpr_workgroup_id_z 1
		.amdhsa_system_sgpr_workgroup_info 0
		.amdhsa_system_vgpr_workitem_id 0
		.amdhsa_next_free_vgpr 17
		.amdhsa_next_free_sgpr 31
		.amdhsa_reserve_vcc 1
		.amdhsa_reserve_flat_scratch 0
		.amdhsa_float_round_mode_32 0
		.amdhsa_float_round_mode_16_64 0
		.amdhsa_float_denorm_mode_32 3
		.amdhsa_float_denorm_mode_16_64 3
		.amdhsa_dx10_clamp 1
		.amdhsa_ieee_mode 1
		.amdhsa_fp16_overflow 0
		.amdhsa_workgroup_processor_mode 1
		.amdhsa_memory_ordered 1
		.amdhsa_forward_progress 1
		.amdhsa_shared_vgpr_count 0
		.amdhsa_exception_fp_ieee_invalid_op 0
		.amdhsa_exception_fp_denorm_src 0
		.amdhsa_exception_fp_ieee_div_zero 0
		.amdhsa_exception_fp_ieee_overflow 0
		.amdhsa_exception_fp_ieee_underflow 0
		.amdhsa_exception_fp_ieee_inexact 0
		.amdhsa_exception_int_div_zero 0
	.end_amdhsa_kernel
	.section	.text._ZL33flash_attn_stream_k_fixup_generalILi256ELi2ELi1EEvPfPK15HIP_vector_typeIfLj2EEiiiiS1_IjLj3EES5_S5_S5_,"axG",@progbits,_ZL33flash_attn_stream_k_fixup_generalILi256ELi2ELi1EEvPfPK15HIP_vector_typeIfLj2EEiiiiS1_IjLj3EES5_S5_S5_,comdat
.Lfunc_end30:
	.size	_ZL33flash_attn_stream_k_fixup_generalILi256ELi2ELi1EEvPfPK15HIP_vector_typeIfLj2EEiiiiS1_IjLj3EES5_S5_S5_, .Lfunc_end30-_ZL33flash_attn_stream_k_fixup_generalILi256ELi2ELi1EEvPfPK15HIP_vector_typeIfLj2EEiiiiS1_IjLj3EES5_S5_S5_
                                        ; -- End function
	.set _ZL33flash_attn_stream_k_fixup_generalILi256ELi2ELi1EEvPfPK15HIP_vector_typeIfLj2EEiiiiS1_IjLj3EES5_S5_S5_.num_vgpr, 17
	.set _ZL33flash_attn_stream_k_fixup_generalILi256ELi2ELi1EEvPfPK15HIP_vector_typeIfLj2EEiiiiS1_IjLj3EES5_S5_S5_.num_agpr, 0
	.set _ZL33flash_attn_stream_k_fixup_generalILi256ELi2ELi1EEvPfPK15HIP_vector_typeIfLj2EEiiiiS1_IjLj3EES5_S5_S5_.numbered_sgpr, 31
	.set _ZL33flash_attn_stream_k_fixup_generalILi256ELi2ELi1EEvPfPK15HIP_vector_typeIfLj2EEiiiiS1_IjLj3EES5_S5_S5_.num_named_barrier, 0
	.set _ZL33flash_attn_stream_k_fixup_generalILi256ELi2ELi1EEvPfPK15HIP_vector_typeIfLj2EEiiiiS1_IjLj3EES5_S5_S5_.private_seg_size, 0
	.set _ZL33flash_attn_stream_k_fixup_generalILi256ELi2ELi1EEvPfPK15HIP_vector_typeIfLj2EEiiiiS1_IjLj3EES5_S5_S5_.uses_vcc, 1
	.set _ZL33flash_attn_stream_k_fixup_generalILi256ELi2ELi1EEvPfPK15HIP_vector_typeIfLj2EEiiiiS1_IjLj3EES5_S5_S5_.uses_flat_scratch, 0
	.set _ZL33flash_attn_stream_k_fixup_generalILi256ELi2ELi1EEvPfPK15HIP_vector_typeIfLj2EEiiiiS1_IjLj3EES5_S5_S5_.has_dyn_sized_stack, 0
	.set _ZL33flash_attn_stream_k_fixup_generalILi256ELi2ELi1EEvPfPK15HIP_vector_typeIfLj2EEiiiiS1_IjLj3EES5_S5_S5_.has_recursion, 0
	.set _ZL33flash_attn_stream_k_fixup_generalILi256ELi2ELi1EEvPfPK15HIP_vector_typeIfLj2EEiiiiS1_IjLj3EES5_S5_S5_.has_indirect_call, 0
	.section	.AMDGPU.csdata,"",@progbits
; Kernel info:
; codeLenInByte = 2936
; TotalNumSgprs: 33
; NumVgprs: 17
; ScratchSize: 0
; MemoryBound: 0
; FloatMode: 240
; IeeeMode: 1
; LDSByteSize: 0 bytes/workgroup (compile time only)
; SGPRBlocks: 0
; VGPRBlocks: 2
; NumSGPRsForWavesPerEU: 33
; NumVGPRsForWavesPerEU: 17
; Occupancy: 16
; WaveLimiterHint : 0
; COMPUTE_PGM_RSRC2:SCRATCH_EN: 0
; COMPUTE_PGM_RSRC2:USER_SGPR: 6
; COMPUTE_PGM_RSRC2:TRAP_HANDLER: 0
; COMPUTE_PGM_RSRC2:TGID_X_EN: 1
; COMPUTE_PGM_RSRC2:TGID_Y_EN: 1
; COMPUTE_PGM_RSRC2:TGID_Z_EN: 1
; COMPUTE_PGM_RSRC2:TIDIG_COMP_CNT: 0
	.section	.text._ZL18flash_attn_ext_vecILi256ELi2EL9ggml_type7ELS0_8ELb1EEvPKcS2_S2_S2_S2_PKiPfP15HIP_vector_typeIfLj2EEffffjfiS6_IjLj3EEiiiiiiiiiiiliiliiiiil,"axG",@progbits,_ZL18flash_attn_ext_vecILi256ELi2EL9ggml_type7ELS0_8ELb1EEvPKcS2_S2_S2_S2_PKiPfP15HIP_vector_typeIfLj2EEffffjfiS6_IjLj3EEiiiiiiiiiiiliiliiiiil,comdat
	.globl	_ZL18flash_attn_ext_vecILi256ELi2EL9ggml_type7ELS0_8ELb1EEvPKcS2_S2_S2_S2_PKiPfP15HIP_vector_typeIfLj2EEffffjfiS6_IjLj3EEiiiiiiiiiiiliiliiiiil ; -- Begin function _ZL18flash_attn_ext_vecILi256ELi2EL9ggml_type7ELS0_8ELb1EEvPKcS2_S2_S2_S2_PKiPfP15HIP_vector_typeIfLj2EEffffjfiS6_IjLj3EEiiiiiiiiiiiliiliiiiil
	.p2align	8
	.type	_ZL18flash_attn_ext_vecILi256ELi2EL9ggml_type7ELS0_8ELb1EEvPKcS2_S2_S2_S2_PKiPfP15HIP_vector_typeIfLj2EEffffjfiS6_IjLj3EEiiiiiiiiiiiliiliiiiil,@function
_ZL18flash_attn_ext_vecILi256ELi2EL9ggml_type7ELS0_8ELb1EEvPKcS2_S2_S2_S2_PKiPfP15HIP_vector_typeIfLj2EEffffjfiS6_IjLj3EEiiiiiiiiiiiliiliiiiil: ; @_ZL18flash_attn_ext_vecILi256ELi2EL9ggml_type7ELS0_8ELb1EEvPKcS2_S2_S2_S2_PKiPfP15HIP_vector_typeIfLj2EEffffjfiS6_IjLj3EEiiiiiiiiiiiliiliiiiil
; %bb.0:
	s_clause 0x2
	s_load_dwordx2 s[36:37], s[6:7], 0x64
	s_load_dwordx2 s[42:43], s[6:7], 0x80
	;; [unrolled: 1-line block ×3, first 2 shown]
	s_mov_b64 s[58:59], s[2:3]
	s_mov_b64 s[56:57], s[0:1]
	s_mov_b32 s34, s9
	s_add_u32 s56, s56, s11
	s_addc_u32 s57, s57, 0
	s_clause 0x1
	s_load_dwordx4 s[28:31], s[6:7], 0x40
	s_load_dwordx2 s[40:41], s[6:7], 0x50
	v_mov_b32_e32 v38, v1
	v_mov_b32_e32 v41, v0
	v_mov_b32_e32 v127, 1.0
	s_waitcnt lgkmcnt(0)
	v_cvt_f32_u32_e32 v3, s37
	s_sub_i32 s1, 0, s37
	v_rcp_iflag_f32_e32 v3, v3
	v_mul_f32_e32 v3, 0x4f7ffffe, v3
	v_cvt_u32_f32_e32 v3, v3
	v_readfirstlane_b32 s0, v3
	s_mul_i32 s1, s1, s0
	s_mul_hi_u32 s1, s0, s1
	s_add_i32 s0, s0, s1
	s_mul_hi_u32 s0, s10, s0
	s_mul_i32 s1, s0, s37
	s_add_i32 s2, s0, 1
	s_sub_i32 s1, s10, s1
	s_sub_i32 s3, s1, s37
	s_cmp_ge_u32 s1, s37
	s_cselect_b32 s0, s2, s0
	s_cselect_b32 s1, s3, s1
	s_add_i32 s2, s0, 1
	s_cmp_ge_u32 s1, s37
	s_cselect_b32 s33, s2, s0
	s_abs_i32 s0, s43
	s_abs_i32 s9, s37
	v_cvt_f32_u32_e32 v3, s0
	s_sub_i32 s2, 0, s0
	s_xor_b32 s3, s37, s43
	s_ashr_i32 s3, s3, 31
	v_rcp_iflag_f32_e32 v3, v3
	v_mul_f32_e32 v3, 0x4f7ffffe, v3
	v_cvt_u32_f32_e32 v3, v3
	v_readfirstlane_b32 s1, v3
	s_mul_i32 s2, s2, s1
	s_mul_hi_u32 s2, s1, s2
	s_add_i32 s1, s1, s2
	s_mul_i32 s2, s33, s37
	s_mul_hi_u32 s1, s9, s1
	s_sub_i32 s38, s10, s2
	s_mul_i32 s11, s1, s0
	s_sub_i32 s2, s9, s11
	s_add_i32 s9, s1, 1
	s_sub_i32 s10, s2, s0
	s_cmp_ge_u32 s2, s0
	s_cselect_b32 s1, s9, s1
	s_cselect_b32 s2, s10, s2
	s_add_i32 s9, s1, 1
	s_cmp_ge_u32 s2, s0
	s_cselect_b32 s0, s9, s1
	s_abs_i32 s43, s44
	s_xor_b32 s0, s0, s3
	v_cvt_f32_u32_e32 v3, s43
	s_sub_i32 s46, s0, s3
	v_cmp_le_f32_e64 s0, s29, 0
	s_abs_i32 s44, s46
	v_cvt_f32_u32_e32 v4, s44
	v_rcp_iflag_f32_e32 v3, v3
	s_and_b32 vcc_lo, exec_lo, s0
	v_rcp_iflag_f32_e32 v4, v4
	v_mul_f32_e32 v3, 0x4f7ffffe, v3
	v_mul_f32_e32 v4, 0x4f7ffffe, v4
	v_cvt_u32_f32_e32 v3, v3
	v_cvt_u32_f32_e32 v4, v4
	v_readfirstlane_b32 s47, v3
	v_readfirstlane_b32 s48, v4
	s_cbranch_vccnz .LBB31_2
; %bb.1:
	v_sub_co_u32 v4, vcc_lo, s38, s40
	v_mov_b32_e32 v3, s30
	s_add_i32 s0, s38, 1
	v_lshlrev_b32_e32 v4, 1, v4
	v_cndmask_b32_e32 v3, s31, v3, vcc_lo
	v_or_b32_e32 v4, 1, v4
	v_cndmask_b32_e64 v4, v4, s0, vcc_lo
	v_cmp_neq_f32_e32 vcc_lo, 1.0, v3
	s_mov_b32 s0, 0x3e76c4e1
	v_cvt_f32_i32_e32 v4, v4
	v_cndmask_b32_e32 v5, 1.0, v4, vcc_lo
	v_cmp_neq_f32_e32 vcc_lo, 0, v5
	v_cndmask_b32_e32 v6, 1.0, v3, vcc_lo
	v_frexp_mant_f32_e64 v3, |v6|
	v_cmp_eq_f32_e64 s2, 0, v6
	v_cmp_gt_f32_e32 vcc_lo, 0x3f2aaaab, v3
	v_cndmask_b32_e64 v4, 1.0, 2.0, vcc_lo
	v_mul_f32_e32 v3, v3, v4
	v_add_f32_e32 v4, 1.0, v3
	v_add_f32_e32 v8, -1.0, v3
	v_rcp_f32_e32 v7, v4
	v_add_f32_e32 v10, -1.0, v4
	v_sub_f32_e32 v3, v3, v10
	v_mul_f32_e32 v9, v8, v7
	v_mul_f32_e32 v11, v4, v9
	v_fma_f32 v4, v9, v4, -v11
	v_fmac_f32_e32 v4, v9, v3
	v_add_f32_e32 v3, v11, v4
	v_sub_f32_e32 v10, v8, v3
	v_sub_f32_e32 v11, v3, v11
	;; [unrolled: 1-line block ×5, first 2 shown]
	v_add_f32_e32 v3, v4, v3
	v_add_f32_e32 v3, v10, v3
	v_mul_f32_e32 v3, v7, v3
	v_add_f32_e32 v7, v9, v3
	v_sub_f32_e32 v4, v7, v9
	v_mul_f32_e32 v8, v7, v7
	v_sub_f32_e32 v9, v3, v4
	v_fma_f32 v3, v7, v7, -v8
	v_add_f32_e32 v4, v9, v9
	v_fmac_f32_e32 v3, v7, v4
	v_add_f32_e32 v10, v8, v3
	v_fmaak_f32 v4, s0, v10, 0x3e91f4c4
	v_sub_f32_e32 v8, v10, v8
	v_mul_f32_e32 v15, v7, v10
	v_fmaak_f32 v4, v10, v4, 0x3ecccdef
	v_sub_f32_e32 v8, v3, v8
	v_fma_f32 v16, v10, v7, -v15
	v_mul_f32_e32 v11, v10, v4
	v_fmac_f32_e32 v16, v10, v9
	v_ldexp_f32 v9, v9, 1
	v_fma_f32 v12, v10, v4, -v11
	v_fmac_f32_e32 v16, v8, v7
	v_fmac_f32_e32 v12, v8, v4
	v_cvt_f64_f32_e64 v[3:4], |v6|
	v_add_f32_e32 v13, v11, v12
	v_sub_f32_e32 v11, v13, v11
	v_add_f32_e32 v14, 0x3f2aaaaa, v13
	v_sub_f32_e32 v11, v12, v11
	v_add_f32_e32 v12, 0xbf2aaaaa, v14
	v_add_f32_e32 v11, 0x31739010, v11
	v_sub_f32_e32 v12, v13, v12
	v_frexp_exp_i32_f64_e32 v3, v[3:4]
	v_add_f32_e32 v10, v11, v12
	v_add_f32_e32 v11, v15, v16
	;; [unrolled: 1-line block ×3, first 2 shown]
	v_sub_f32_e32 v13, v11, v15
	v_sub_f32_e32 v4, v14, v8
	v_mul_f32_e32 v12, v11, v8
	v_sub_f32_e32 v13, v16, v13
	v_add_f32_e32 v4, v10, v4
	v_fma_f32 v10, v11, v8, -v12
	v_subrev_co_ci_u32_e64 v3, null, 0, v3, vcc_lo
	v_fmac_f32_e32 v10, v11, v4
	v_ldexp_f32 v4, v7, 1
	v_cvt_f32_i32_e32 v3, v3
	v_fmac_f32_e32 v10, v13, v8
	v_add_f32_e32 v7, v12, v10
	v_add_f32_e32 v8, v4, v7
	v_sub_f32_e32 v11, v7, v12
	v_mul_f32_e32 v12, 0x3f317218, v3
	v_sub_f32_e32 v4, v8, v4
	v_sub_f32_e32 v10, v10, v11
	v_fma_f32 v11, 0x3f317218, v3, -v12
	v_sub_f32_e32 v4, v7, v4
	v_add_f32_e32 v7, v9, v10
	v_fmamk_f32 v3, v3, 0xb102e308, v11
	v_add_f32_e32 v4, v7, v4
	v_add_f32_e32 v7, v12, v3
	;; [unrolled: 1-line block ×3, first 2 shown]
	v_sub_f32_e32 v12, v7, v12
	v_add_f32_e32 v10, v7, v9
	v_sub_f32_e32 v8, v9, v8
	v_sub_f32_e32 v3, v3, v12
	;; [unrolled: 1-line block ×6, first 2 shown]
	v_add_f32_e32 v9, v3, v4
	v_sub_f32_e32 v7, v7, v13
	v_add_f32_e32 v7, v8, v7
	v_sub_f32_e32 v8, v9, v3
	v_add_f32_e32 v7, v9, v7
	v_sub_f32_e32 v9, v9, v8
	v_sub_f32_e32 v4, v4, v8
	v_add_f32_e32 v11, v10, v7
	v_sub_f32_e32 v3, v3, v9
	v_sub_f32_e32 v8, v11, v10
	v_add_f32_e32 v3, v4, v3
	v_sub_f32_e32 v4, v7, v8
	v_add_f32_e32 v3, v3, v4
	v_add_f32_e32 v4, v11, v3
	v_sub_f32_e32 v7, v4, v11
	v_mul_f32_e32 v8, v5, v4
	v_sub_f32_e32 v3, v3, v7
	v_fma_f32 v4, v5, v4, -v8
	v_cmp_class_f32_e64 vcc_lo, v8, 0x204
	v_fmac_f32_e32 v4, v5, v3
	v_add_f32_e32 v3, v8, v4
	v_cndmask_b32_e32 v7, v3, v8, vcc_lo
	v_sub_f32_e32 v3, v3, v8
	v_cmp_eq_f32_e32 vcc_lo, 0x42b17218, v7
	v_sub_f32_e32 v3, v4, v3
	v_cndmask_b32_e64 v9, 0, 0x37000000, vcc_lo
	v_cmp_neq_f32_e64 vcc_lo, 0x7f800000, |v7|
	v_sub_f32_e32 v10, v7, v9
	v_cndmask_b32_e32 v3, 0, v3, vcc_lo
	v_trunc_f32_e32 v7, v5
	v_mul_f32_e32 v11, 0x3fb8aa3b, v10
	v_cmp_ngt_f32_e32 vcc_lo, 0xc2ce8ed0, v10
	v_add_f32_e32 v3, v9, v3
	v_fma_f32 v12, 0x3fb8aa3b, v10, -v11
	v_rndne_f32_e32 v13, v11
	v_fmamk_f32 v12, v10, 0x32a5705f, v12
	v_sub_f32_e32 v11, v11, v13
	v_cvt_i32_f32_e32 v8, v13
	v_add_f32_e32 v11, v11, v12
	v_exp_f32_e32 v11, v11
	v_ldexp_f32 v4, v11, v8
	v_mul_f32_e32 v8, 0.5, v5
	v_cndmask_b32_e32 v4, 0, v4, vcc_lo
	v_cmp_nlt_f32_e32 vcc_lo, 0x42b17218, v10
	v_trunc_f32_e32 v11, v8
	v_cndmask_b32_e32 v4, 0x7f800000, v4, vcc_lo
	v_cmp_eq_f32_e32 vcc_lo, v7, v5
	v_cmp_neq_f32_e64 s0, v11, v8
	v_fma_f32 v3, v4, v3, v4
	v_cmp_class_f32_e64 s1, v4, 0x204
	s_and_b32 s0, vcc_lo, s0
	v_cndmask_b32_e64 v7, 1.0, v6, s0
	v_cndmask_b32_e64 v3, v3, v4, s1
	v_cmp_gt_f32_e64 s1, 0, v5
	v_bfi_b32 v3, 0x7fffffff, v3, v7
	s_xor_b32 s1, s1, s2
	v_cndmask_b32_e64 v7, 0, v6, s0
	v_cndmask_b32_e64 v4, 0x7f800000, 0, s1
	v_cmp_class_f32_e64 s0, v6, 0x204
	v_cndmask_b32_e32 v5, 0x7fc00000, v3, vcc_lo
	v_cmp_gt_f32_e32 vcc_lo, 0, v6
	v_bfi_b32 v4, 0x7fffffff, v4, v7
	v_cndmask_b32_e32 v3, v3, v5, vcc_lo
	s_or_b32 vcc_lo, s2, s0
	v_cndmask_b32_e32 v3, v3, v4, vcc_lo
	v_cmp_o_f32_e32 vcc_lo, v6, v6
	v_cndmask_b32_e32 v127, 0x7fc00000, v3, vcc_lo
.LBB31_2:
	s_load_dwordx2 s[0:1], s[4:5], 0x4
	s_load_dwordx16 s[12:27], s[6:7], 0x0
	v_mov_b32_e32 v30, 0
	v_lshlrev_b32_e32 v39, 9, v38
	v_lshlrev_b32_e32 v42, 2, v41
	s_lshl_b32 s35, s8, 1
	s_mov_b32 s5, exec_lo
	s_waitcnt lgkmcnt(0)
	v_mul_u32_u24_e32 v3, s1, v38
	s_lshr_b32 s0, s0, 16
	s_mul_i32 s0, s0, s1
	v_mad_u32_u24 v3, s0, v41, v3
	v_cmp_lt_u32_e64 s0, 1, v38
	v_add_lshl_u32 v35, v3, v2, 5
	v_add_nc_u32_e32 v2, 0xa04, v35
	v_add_nc_u32_e32 v3, 0xa0c, v35
	v_add_nc_u32_e32 v4, 0xa14, v35
	v_add_nc_u32_e32 v5, 0x800, v35
	ds_write2_b32 v2, v30, v30 offset1:1
	ds_write2_b32 v3, v30, v30 offset1:1
	;; [unrolled: 1-line block ×3, first 2 shown]
	ds_write2_b32 v5, v30, v30 offset0:128 offset1:135
	v_cmpx_gt_u32_e32 2, v38
	s_cbranch_execz .LBB31_17
; %bb.3:
	v_lshl_add_u32 v4, v41, 3, v39
	v_sub_nc_u32_e32 v3, 0, v42
	v_or_b32_e32 v2, s35, v38
	v_or_b32_e32 v6, v39, v41
	s_mov_b32 s1, exec_lo
	v_add_nc_u32_e32 v7, v4, v3
	v_cmpx_le_i32_e64 s36, v2
	s_xor_b32 s1, exec_lo, s1
	s_cbranch_execz .LBB31_7
; %bb.4:
	v_mov_b32_e32 v2, 0
	v_mad_u32_u24 v3, v41, 3, v6
	s_mov_b32 s2, exec_lo
	ds_write_b32 v7, v2
	ds_write_b32 v3, v2 offset:128
	v_cmpx_gt_u32_e32 8, v41
; %bb.5:
	v_mov_b32_e32 v3, v2
	ds_write_b64 v4, v[2:3] offset:256
; %bb.6:
	s_or_b32 exec_lo, exec_lo, s2
                                        ; implicit-def: $vgpr7
                                        ; implicit-def: $vgpr6
.LBB31_7:
	s_andn2_saveexec_b32 s1, s1
	s_cbranch_execz .LBB31_17
; %bb.8:
	s_load_dwordx4 s[52:55], s[6:7], 0x70
	v_lshlrev_b32_e32 v3, 2, v42
	s_mov_b32 s4, exec_lo
	s_waitcnt lgkmcnt(0)
	v_mul_lo_u32 v2, s52, v38
	s_mul_i32 s1, s33, s54
	s_mul_i32 s2, s52, s35
	;; [unrolled: 1-line block ×3, first 2 shown]
	s_add_i32 s1, s1, s2
	s_add_i32 s1, s1, s3
	s_ashr_i32 s2, s1, 31
	v_ashrrev_i32_e32 v4, 31, v2
	s_add_u32 s1, s12, s1
	s_addc_u32 s2, s13, s2
	v_add_co_u32 v2, vcc_lo, s1, v2
	v_add_co_ci_u32_e64 v4, null, s2, v4, vcc_lo
	v_add_co_u32 v2, vcc_lo, v2, v3
	v_add_co_ci_u32_e64 v3, null, 0, v4, vcc_lo
	v_mbcnt_lo_u32_b32 v4, -1, 0
	global_load_dwordx4 v[16:19], v[2:3], off
	v_xor_b32_e32 v5, 4, v4
	v_xor_b32_e32 v10, 2, v4
	;; [unrolled: 1-line block ×3, first 2 shown]
	v_cmp_gt_i32_e32 vcc_lo, 32, v5
	v_cndmask_b32_e32 v5, v4, v5, vcc_lo
	v_cmp_gt_i32_e32 vcc_lo, 32, v10
	v_lshlrev_b32_e32 v8, 2, v5
	v_cndmask_b32_e32 v10, v4, v10, vcc_lo
	v_cmp_gt_i32_e32 vcc_lo, 32, v12
	v_lshlrev_b32_e32 v10, 2, v10
	v_cndmask_b32_e32 v4, v4, v12, vcc_lo
	s_waitcnt vmcnt(0)
	v_mul_f32_e32 v11, s28, v16
	v_mul_f32_e32 v13, s28, v17
	;; [unrolled: 1-line block ×4, first 2 shown]
	v_max_f32_e64 v9, |v11|, |v13|
	v_max3_f32 v5, v9, |v15|, |v14|
	ds_bpermute_b32 v9, v8, v5
	s_waitcnt lgkmcnt(0)
	v_max_f32_e32 v9, v9, v9
	v_max_f32_e32 v5, v5, v9
	ds_bpermute_b32 v9, v10, v5
	s_waitcnt lgkmcnt(0)
	v_max_f32_e32 v12, v9, v9
	v_lshlrev_b32_e32 v9, 2, v4
	v_max_f32_e32 v4, v5, v12
	v_fma_f32 v12, s28, v16, v13
	ds_bpermute_b32 v5, v9, v4
	v_fmac_f32_e32 v12, s28, v18
	v_fmac_f32_e32 v12, s28, v19
	ds_bpermute_b32 v16, v8, v12
	s_waitcnt lgkmcnt(1)
	v_max_f32_e32 v5, v5, v5
	v_max_f32_e32 v4, v4, v5
	v_div_scale_f32 v17, null, 0x42fe0000, 0x42fe0000, v4
	s_waitcnt lgkmcnt(0)
	v_add_f32_e32 v5, v12, v16
	v_div_scale_f32 v19, vcc_lo, v4, 0x42fe0000, v4
	v_rcp_f32_e32 v18, v17
	ds_bpermute_b32 v16, v10, v5
	v_fma_f32 v12, -v17, v18, 1.0
	v_fmac_f32_e32 v18, v12, v18
	v_mul_f32_e32 v20, v19, v18
	s_waitcnt lgkmcnt(0)
	v_add_f32_e32 v5, v5, v16
	v_fma_f32 v12, -v17, v20, v19
	v_fmac_f32_e32 v20, v12, v18
	ds_bpermute_b32 v12, v9, v5
	v_fma_f32 v16, -v17, v20, v19
	v_div_fmas_f32 v16, v16, v18, v20
	v_div_fixup_f32 v4, v16, 0x42fe0000, v4
	v_mov_b32_e32 v16, 0
	v_cmpx_neq_f32_e32 0, v4
	s_cbranch_execz .LBB31_10
; %bb.9:
	v_div_scale_f32 v16, null, v4, v4, v11
	v_div_scale_f32 v17, null, v4, v4, v13
	;; [unrolled: 1-line block ×3, first 2 shown]
	v_rcp_f32_e32 v18, v16
	v_div_scale_f32 v20, null, v4, v4, v14
	v_rcp_f32_e32 v21, v17
	v_rcp_f32_e32 v22, v19
	v_div_scale_f32 v26, vcc_lo, v11, v4, v11
	v_rcp_f32_e32 v23, v20
	v_fma_f32 v24, -v16, v18, 1.0
	v_fma_f32 v25, -v17, v21, 1.0
	;; [unrolled: 1-line block ×3, first 2 shown]
	v_fmac_f32_e32 v18, v24, v18
	v_div_scale_f32 v24, s1, v13, v4, v13
	v_fma_f32 v28, -v20, v23, 1.0
	v_fmac_f32_e32 v21, v25, v21
	v_fmac_f32_e32 v22, v27, v22
	v_div_scale_f32 v25, s2, v15, v4, v15
	v_fmac_f32_e32 v23, v28, v23
	v_mul_f32_e32 v28, v26, v18
	v_mul_f32_e32 v29, v24, v21
	;; [unrolled: 1-line block ×3, first 2 shown]
	v_div_scale_f32 v27, s3, v14, v4, v14
	v_fma_f32 v33, -v16, v28, v26
	v_fma_f32 v34, -v17, v29, v24
	;; [unrolled: 1-line block ×3, first 2 shown]
	v_mul_f32_e32 v32, v27, v23
	v_fmac_f32_e32 v28, v33, v18
	v_fmac_f32_e32 v29, v34, v21
	;; [unrolled: 1-line block ×3, first 2 shown]
	v_fma_f32 v37, -v20, v32, v27
	v_fma_f32 v16, -v16, v28, v26
	;; [unrolled: 1-line block ×4, first 2 shown]
	v_fmac_f32_e32 v32, v37, v23
	v_div_fmas_f32 v16, v16, v18, v28
	s_mov_b32 vcc_lo, s1
	v_div_fmas_f32 v17, v17, v21, v29
	s_mov_b32 vcc_lo, s2
	v_div_fixup_f32 v11, v16, v4, v11
	v_div_fmas_f32 v18, v19, v22, v31
	v_fma_f32 v19, -v20, v32, v27
	s_mov_b32 vcc_lo, s3
	v_div_fixup_f32 v13, v17, v4, v13
	v_div_fixup_f32 v15, v18, v4, v15
	v_div_fmas_f32 v18, v19, v23, v32
	v_trunc_f32_e32 v17, v13
	v_trunc_f32_e32 v19, v15
	v_div_fixup_f32 v14, v18, v4, v14
	v_trunc_f32_e32 v18, v11
	v_sub_f32_e32 v21, v13, v17
	v_sub_f32_e32 v16, v15, v19
	v_trunc_f32_e32 v20, v14
	v_sub_f32_e32 v23, v11, v18
	v_cmp_ge_f32_e64 s1, |v16|, 0.5
	v_sub_f32_e32 v22, v14, v20
	v_cndmask_b32_e64 v16, 0, 1.0, s1
	v_cmp_ge_f32_e64 s1, |v21|, 0.5
	v_bfi_b32 v15, 0x7fffffff, v16, v15
	v_cndmask_b32_e64 v16, 0, 1.0, s1
	v_cmp_ge_f32_e64 s1, |v22|, 0.5
	v_add_f32_e32 v15, v19, v15
	v_bfi_b32 v13, 0x7fffffff, v16, v13
	v_cndmask_b32_e64 v21, 0, 1.0, s1
	v_cmp_ge_f32_e64 s1, |v23|, 0.5
	v_mov_b32_e32 v16, 8
	v_cvt_i32_f32_e32 v15, v15
	v_add_f32_e32 v13, v17, v13
	v_bfi_b32 v14, 0x7fffffff, v21, v14
	v_cndmask_b32_e64 v19, 0, 1.0, s1
	v_and_b32_e32 v15, 0xff, v15
	v_cvt_i32_f32_e32 v13, v13
	v_add_f32_e32 v14, v20, v14
	v_bfi_b32 v11, 0x7fffffff, v19, v11
	v_lshlrev_b32_e32 v15, 16, v15
	v_lshlrev_b32_sdwa v13, v16, v13 dst_sel:DWORD dst_unused:UNUSED_PAD src0_sel:DWORD src1_sel:BYTE_0
	v_cvt_i32_f32_e32 v14, v14
	v_add_f32_e32 v11, v18, v11
	v_lshl_or_b32 v14, v14, 24, v15
	v_cvt_i32_f32_e32 v11, v11
	v_and_b32_e32 v11, 0xff, v11
	v_or3_b32 v16, v14, v13, v11
.LBB31_10:
	s_or_b32 exec_lo, exec_lo, s4
	v_and_b32_e32 v11, 7, v41
	ds_write_b32 v7, v16
	v_cmp_eq_u32_e64 s1, 0, v11
	s_and_saveexec_b32 s2, s1
	s_cbranch_execz .LBB31_12
; %bb.11:
	s_waitcnt lgkmcnt(1)
	v_add_f32_e32 v5, v5, v12
	ds_write_b64 v6, v[4:5] offset:256
.LBB31_12:
	s_or_b32 exec_lo, exec_lo, s2
	global_load_dwordx4 v[14:17], v[2:3], off offset:512
	s_mov_b32 s9, exec_lo
	s_waitcnt vmcnt(0)
	v_mul_f32_e32 v5, s28, v14
	v_mul_f32_e32 v11, s28, v15
	;; [unrolled: 1-line block ×3, first 2 shown]
	s_waitcnt lgkmcnt(1)
	v_mul_f32_e32 v12, s28, v17
	v_max_f32_e64 v2, |v5|, |v11|
	v_fma_f32 v4, s28, v14, v11
	v_max3_f32 v2, v2, |v13|, |v12|
	v_fmac_f32_e32 v4, s28, v16
	ds_bpermute_b32 v3, v8, v2
	v_fmac_f32_e32 v4, s28, v17
	ds_bpermute_b32 v8, v8, v4
	s_waitcnt lgkmcnt(1)
	v_max_f32_e32 v3, v3, v3
	v_max_f32_e32 v2, v2, v3
	ds_bpermute_b32 v3, v10, v2
	s_waitcnt lgkmcnt(0)
	v_max_f32_e32 v3, v3, v3
	v_max_f32_e32 v2, v2, v3
	;; [unrolled: 4-line block ×3, first 2 shown]
	v_add_f32_e32 v3, v4, v8
	v_div_scale_f32 v14, null, 0x42fe0000, 0x42fe0000, v2
	ds_bpermute_b32 v8, v10, v3
	v_div_scale_f32 v10, vcc_lo, v2, 0x42fe0000, v2
	v_rcp_f32_e32 v15, v14
	v_fma_f32 v4, -v14, v15, 1.0
	v_fmac_f32_e32 v15, v4, v15
	s_waitcnt lgkmcnt(0)
	v_add_f32_e32 v3, v3, v8
	v_mul_f32_e32 v16, v10, v15
	v_fma_f32 v4, -v14, v16, v10
	v_fmac_f32_e32 v16, v4, v15
	ds_bpermute_b32 v4, v9, v3
	v_fma_f32 v8, -v14, v16, v10
	v_div_fmas_f32 v8, v8, v15, v16
	v_div_fixup_f32 v2, v8, 0x42fe0000, v2
	v_mov_b32_e32 v8, 0
	v_cmpx_neq_f32_e32 0, v2
	s_cbranch_execz .LBB31_14
; %bb.13:
	v_div_scale_f32 v8, null, v2, v2, v5
	v_div_scale_f32 v9, null, v2, v2, v11
	;; [unrolled: 1-line block ×3, first 2 shown]
	v_rcp_f32_e32 v10, v8
	v_div_scale_f32 v15, null, v2, v2, v12
	v_rcp_f32_e32 v16, v9
	v_rcp_f32_e32 v17, v14
	v_div_scale_f32 v21, vcc_lo, v5, v2, v5
	v_rcp_f32_e32 v18, v15
	v_fma_f32 v19, -v8, v10, 1.0
	v_fma_f32 v20, -v9, v16, 1.0
	;; [unrolled: 1-line block ×3, first 2 shown]
	v_fmac_f32_e32 v10, v19, v10
	v_div_scale_f32 v19, s2, v11, v2, v11
	v_fma_f32 v23, -v15, v18, 1.0
	v_fmac_f32_e32 v16, v20, v16
	v_fmac_f32_e32 v17, v22, v17
	v_div_scale_f32 v20, s3, v13, v2, v13
	v_fmac_f32_e32 v18, v23, v18
	v_mul_f32_e32 v23, v21, v10
	v_mul_f32_e32 v24, v19, v16
	;; [unrolled: 1-line block ×3, first 2 shown]
	v_div_scale_f32 v22, s4, v12, v2, v12
	v_fma_f32 v27, -v8, v23, v21
	v_fma_f32 v28, -v9, v24, v19
	;; [unrolled: 1-line block ×3, first 2 shown]
	v_mul_f32_e32 v26, v22, v18
	v_fmac_f32_e32 v23, v27, v10
	v_fmac_f32_e32 v24, v28, v16
	;; [unrolled: 1-line block ×3, first 2 shown]
	v_fma_f32 v31, -v15, v26, v22
	v_fma_f32 v8, -v8, v23, v21
	v_fma_f32 v9, -v9, v24, v19
	v_fma_f32 v14, -v14, v25, v20
	v_fmac_f32_e32 v26, v31, v18
	v_div_fmas_f32 v8, v8, v10, v23
	s_mov_b32 vcc_lo, s2
	v_div_fmas_f32 v9, v9, v16, v24
	s_mov_b32 vcc_lo, s3
	v_div_fixup_f32 v5, v8, v2, v5
	v_div_fmas_f32 v10, v14, v17, v25
	v_fma_f32 v14, -v15, v26, v22
	s_mov_b32 vcc_lo, s4
	v_div_fixup_f32 v9, v9, v2, v11
	v_div_fixup_f32 v10, v10, v2, v13
	v_div_fmas_f32 v13, v14, v18, v26
	v_trunc_f32_e32 v14, v10
	v_div_fixup_f32 v8, v13, v2, v12
	v_trunc_f32_e32 v12, v9
	v_trunc_f32_e32 v13, v5
	v_sub_f32_e32 v11, v10, v14
	v_trunc_f32_e32 v15, v8
	v_sub_f32_e32 v16, v9, v12
	v_sub_f32_e32 v18, v5, v13
	v_cmp_ge_f32_e64 s2, |v11|, 0.5
	v_sub_f32_e32 v17, v8, v15
	v_cndmask_b32_e64 v11, 0, 1.0, s2
	v_cmp_ge_f32_e64 s2, |v16|, 0.5
	v_bfi_b32 v10, 0x7fffffff, v11, v10
	v_cndmask_b32_e64 v11, 0, 1.0, s2
	v_cmp_ge_f32_e64 s2, |v17|, 0.5
	v_add_f32_e32 v10, v14, v10
	v_bfi_b32 v9, 0x7fffffff, v11, v9
	v_cndmask_b32_e64 v16, 0, 1.0, s2
	v_cmp_ge_f32_e64 s2, |v18|, 0.5
	v_mov_b32_e32 v11, 8
	v_cvt_i32_f32_e32 v10, v10
	v_add_f32_e32 v9, v12, v9
	v_bfi_b32 v8, 0x7fffffff, v16, v8
	v_cndmask_b32_e64 v14, 0, 1.0, s2
	v_and_b32_e32 v10, 0xff, v10
	v_cvt_i32_f32_e32 v9, v9
	v_add_f32_e32 v8, v15, v8
	v_bfi_b32 v5, 0x7fffffff, v14, v5
	v_lshlrev_b32_e32 v10, 16, v10
	v_lshlrev_b32_sdwa v9, v11, v9 dst_sel:DWORD dst_unused:UNUSED_PAD src0_sel:DWORD src1_sel:BYTE_0
	v_cvt_i32_f32_e32 v8, v8
	v_add_f32_e32 v5, v13, v5
	v_lshl_or_b32 v8, v8, 24, v10
	v_cvt_i32_f32_e32 v5, v5
	v_and_b32_e32 v5, 0xff, v5
	v_or3_b32 v8, v8, v9, v5
.LBB31_14:
	s_or_b32 exec_lo, exec_lo, s9
	ds_write_b32 v7, v8 offset:128
	s_and_saveexec_b32 s2, s1
	s_cbranch_execz .LBB31_16
; %bb.15:
	s_waitcnt lgkmcnt(1)
	v_add_f32_e32 v3, v3, v4
	ds_write_b64 v6, v[2:3] offset:288
.LBB31_16:
	s_or_b32 exec_lo, exec_lo, s2
.LBB31_17:
	s_or_b32 exec_lo, exec_lo, s5
	v_and_b32_e32 v34, 1, v41
	s_waitcnt lgkmcnt(0)
	s_barrier
	buffer_gl0_inv
	s_cmp_eq_u64 s[22:23], 0
	v_lshlrev_b32_e32 v131, 2, v34
	s_mov_b32 s39, s42
	ds_read2_b32 v[48:49], v131 offset1:2
	ds_read2_b32 v[50:51], v131 offset0:4 offset1:6
	ds_read2_b32 v[52:53], v131 offset0:8 offset1:10
	;; [unrolled: 1-line block ×31, first 2 shown]
	ds_read_b128 v[2:5], v30 offset:256
	ds_read_b128 v[6:9], v30 offset:272
	;; [unrolled: 1-line block ×8, first 2 shown]
	s_waitcnt lgkmcnt(0)
	s_barrier
	buffer_gl0_inv
	s_cbranch_scc1 .LBB31_19
; %bb.18:
	s_load_dword s1, s[6:7], 0xd0
	s_mov_b32 s3, 0
	s_waitcnt lgkmcnt(0)
	s_mul_i32 s1, s1, s33
	s_add_i32 s2, s1, s8
	s_lshl_b64 s[2:3], s[2:3], 2
	s_add_u32 s2, s22, s2
	s_addc_u32 s3, s23, s3
	s_load_dword s39, s[2:3], 0x0
.LBB31_19:
	v_lshlrev_b32_e32 v36, 5, v38
	v_add_nc_u32_e32 v129, 0xa00, v35
	s_mov_b32 s12, 0xfeffffff
	s_mov_b32 s22, 0
	;; [unrolled: 1-line block ×3, first 2 shown]
	v_add_nc_u32_e32 v35, v36, v41
	s_mov_b32 s23, s22
	v_mov_b32_e32 v117, s13
	v_mov_b32_e32 v47, s23
	;; [unrolled: 1-line block ×4, first 2 shown]
	v_mbcnt_lo_u32_b32 v43, -1, 0
	v_lshlrev_b32_e32 v128, 1, v35
	s_lshl_b32 s2, s34, 7
	s_waitcnt lgkmcnt(0)
	s_cmp_ge_i32 s2, s39
	s_cbranch_scc1 .LBB31_47
; %bb.20:
	buffer_store_dword v35, off, s[56:59], 0 offset:36 ; 4-byte Folded Spill
	buffer_store_dword v39, off, s[56:59], 0 offset:28 ; 4-byte Folded Spill
	;; [unrolled: 1-line block ×3, first 2 shown]
	s_clause 0x1
	s_load_dwordx4 s[8:11], s[6:7], 0x98
	s_load_dwordx2 s[28:29], s[6:7], 0x8c
	s_sub_i32 s1, 0, s44
	s_sub_i32 s4, 0, s43
	s_mul_i32 s1, s1, s48
	s_abs_i32 s5, s38
	s_mul_hi_u32 s1, s48, s1
	s_mul_i32 s4, s4, s47
	s_add_i32 s48, s48, s1
	s_ashr_i32 s49, s38, 31
	s_ashr_i32 s46, s46, 31
	s_ashr_i32 s3, s33, 31
	s_mul_hi_u32 s1, s47, s4
	s_mul_hi_u32 s4, s5, s48
	s_xor_b32 s46, s49, s46
	s_add_i32 s47, s47, s1
	s_mul_i32 s1, s4, s44
	s_load_dwordx2 s[30:31], s[6:7], 0xa8
	s_sub_i32 s1, s5, s1
	s_abs_i32 s40, s33
	s_waitcnt lgkmcnt(0)
	v_mul_lo_u32 v132, v36, s10
	s_mul_hi_u32 s48, s8, s33
	s_mul_i32 s49, s8, s3
	s_mul_i32 s9, s9, s33
	s_add_i32 s48, s48, s49
	s_add_i32 s5, s4, 1
	;; [unrolled: 1-line block ×3, first 2 shown]
	s_sub_i32 s9, s1, s44
	v_add_nc_u32_e32 v133, s10, v132
	s_cmp_ge_u32 s1, s44
	s_mul_i32 s8, s8, s33
	s_cselect_b32 s4, s5, s4
	s_cselect_b32 s1, s9, s1
	v_add_nc_u32_e32 v134, s10, v133
	s_add_i32 s5, s4, 1
	s_cmp_ge_u32 s1, s44
	v_and_b32_e32 v35, 0x7e, v41
	s_cselect_b32 s1, s5, s4
	v_add_nc_u32_e32 v135, s10, v134
	s_xor_b32 s9, s1, s46
	s_mul_hi_u32 s44, s30, s33
	s_sub_i32 s9, s9, s46
	s_clause 0x1
	s_load_dwordx2 s[4:5], s[6:7], 0xc8
	s_load_dword s1, s[6:7], 0xd4
	v_add_nc_u32_e32 v136, s10, v135
	s_mul_i32 s29, s9, s29
	s_mul_i32 s9, s9, s11
	s_ashr_i32 s46, s29, 31
	s_add_u32 s8, s14, s8
	v_add_nc_u32_e32 v137, s10, v136
	s_addc_u32 s14, s15, s48
	s_mul_i32 s15, s30, s3
	s_add_u32 s8, s8, s29
	s_addc_u32 s29, s14, s46
	v_add_nc_u32_e32 v138, s10, v137
	s_add_i32 s14, s44, s15
	s_mul_i32 s15, s31, s33
	s_mul_i32 s11, s30, s33
	s_mul_hi_u32 s31, s40, s47
	v_add_nc_u32_e32 v139, s10, v138
	s_add_i32 s14, s14, s15
	s_ashr_i32 s15, s9, 31
	s_add_u32 s11, s16, s11
	s_addc_u32 s14, s17, s14
	v_add_nc_u32_e32 v140, s10, v139
	s_mul_i32 s31, s31, s43
	s_add_u32 s9, s11, s9
	s_addc_u32 s11, s14, s15
	s_sub_i32 s14, s40, s31
	v_add_nc_u32_e32 v141, s10, v140
	s_sub_i32 s15, s14, s43
	s_cmp_ge_u32 s14, s43
	v_add_nc_u32_e32 v146, v36, v35
	s_cselect_b32 s14, s15, s14
	v_add_nc_u32_e32 v142, s10, v141
	s_sub_i32 s15, s14, s43
	s_cmp_ge_u32 s14, s43
	v_or_b32_e32 v35, 56, v131
	s_cselect_b32 s14, s15, s14
	v_add_nc_u32_e32 v143, s10, v142
	s_xor_b32 s14, s14, s3
	v_or_b32_e32 v38, 0xb8, v131
	s_sub_i32 s3, s14, s3
	v_and_b32_e32 v153, 12, v35
	v_add_nc_u32_e32 v144, s10, v143
	v_and_b32_e32 v154, 28, v35
	v_or_b32_e32 v35, 0x78, v131
	s_ashr_i32 s14, s3, 31
	s_waitcnt lgkmcnt(0)
	s_mul_hi_u32 s15, s4, s3
	v_add_nc_u32_e32 v145, s10, v144
	s_mul_i32 s14, s4, s14
	v_and_b32_e32 v158, 12, v35
	v_and_b32_e32 v160, 28, v35
	;; [unrolled: 1-line block ×3, first 2 shown]
	v_add_nc_u32_e32 v149, s10, v145
	s_add_i32 s14, s15, s14
	s_mul_i32 s5, s5, s3
	s_mul_i32 s3, s4, s3
	s_add_i32 s14, s14, s5
	v_add_nc_u32_e32 v152, s10, v149
	s_mul_i32 s4, s45, s35
	s_add_u32 s3, s18, s3
	s_addc_u32 s5, s19, s14
	s_ashr_i32 s14, s4, 31
	v_add_nc_u32_e32 v156, s10, v152
	v_and_b32_e32 v163, 12, v38
	v_and_b32_e32 v165, 28, v38
	v_xor_b32_e32 v38, 1, v43
	v_add_nc_u32_e32 v35, 2, v35
	v_add_nc_u32_e32 v159, s10, v156
	s_add_u32 s15, s3, s4
	s_mov_b32 s3, s22
	s_addc_u32 s14, s5, s14
	s_lshl_b64 s[4:5], s[2:3], 1
	v_add_nc_u32_e32 v164, s10, v159
	s_add_u32 s4, s15, s4
	s_mul_i32 s3, s10, s2
	v_cmp_lt_i32_e32 vcc_lo, v38, v35
	s_addc_u32 s5, s14, s5
	v_add_nc_u32_e32 v166, s10, v164
	s_add_u32 s3, s9, s3
	s_mul_i32 s9, s28, s2
	s_addc_u32 s11, s11, 0
	s_add_u32 s14, s8, s9
	v_add_nc_u32_e32 v169, s10, v166
	s_addc_u32 s15, s29, 0
	v_cndmask_b32_e32 v35, v43, v38, vcc_lo
	s_cmp_lg_u64 s[18:19], 0
	v_or_b32_e32 v37, 0x58, v131
	v_add_nc_u32_e32 v172, s10, v169
	s_cselect_b32 s19, -1, 0
	s_lshl_b32 s8, s1, 7
	s_cmp_lt_i32 s35, s36
	v_lshlrev_b32_e32 v174, 2, v35
	v_add_nc_u32_e32 v175, s10, v172
	v_xor_b32_e32 v35, 2, v43
	s_cselect_b32 s1, -1, 0
	v_and_b32_e32 v155, 12, v37
	v_and_b32_e32 v157, 28, v37
	v_add_nc_u32_e32 v176, s10, v175
	v_or_b32_e32 v37, 0x98, v131
	s_and_b32 s18, s19, s1
	s_or_b32 s1, s35, 1
	v_or_b32_e32 v39, 0xf8, v131
	v_add_nc_u32_e32 v177, s10, v176
	s_cmp_lt_i32 s1, s36
	v_cmp_eq_u32_e64 s1, 0, v34
	v_xor_b32_e32 v34, 4, v43
	v_cmp_gt_i32_e32 vcc_lo, 32, v35
	v_add_nc_u32_e32 v179, s10, v177
	v_and_b32_e32 v161, 12, v37
	v_and_b32_e32 v162, 28, v37
	v_or_b32_e32 v37, 0xd8, v131
	v_and_b32_e32 v170, 12, v39
	v_add_nc_u32_e32 v180, s10, v179
	v_and_b32_e32 v171, 28, v39
	v_cndmask_b32_e32 v35, v43, v35, vcc_lo
	v_xor_b32_e32 v39, 8, v43
	v_cmp_gt_i32_e32 vcc_lo, 32, v34
	v_add_nc_u32_e32 v181, s10, v180
	v_and_b32_e32 v167, 12, v37
	v_and_b32_e32 v168, 28, v37
	v_add_nc_u32_e32 v37, s42, v146
	v_mul_lo_u32 v173, v146, s28
	v_xor_b32_e32 v40, 16, v43
	v_cndmask_b32_e32 v34, v43, v34, vcc_lo
	v_cmp_gt_i32_e32 vcc_lo, 32, v39
	v_add_nc_u32_e32 v183, s10, v181
	v_ashrrev_i32_e32 v38, 31, v37
	v_bfe_u32 v0, v41, 3, 27
	s_mul_i32 s16, s8, s28
	v_cndmask_b32_e32 v39, v43, v39, vcc_lo
	v_cmp_gt_i32_e32 vcc_lo, 32, v40
	v_add_nc_u32_e32 v187, s10, v183
	v_add_nc_u32_e32 v178, s28, v173
	s_cselect_b32 s28, -1, 0
	v_lshlrev_b32_e32 v184, 2, v34
	buffer_store_dword v41, off, s[56:59], 0 offset:20 ; 4-byte Folded Spill
	buffer_store_dword v0, off, s[56:59], 0 ; 4-byte Folded Spill
	buffer_store_dword v42, off, s[56:59], 0 offset:32 ; 4-byte Folded Spill
	s_ashr_i32 s9, s42, 31
	v_add_co_u32 v34, s29, s42, v146
	v_lshlrev_b64 v[0:1], 1, v[37:38]
	v_lshlrev_b32_e32 v182, 2, v35
	v_add_co_ci_u32_e64 v35, null, s9, 0, s29
	v_or_b32_e32 v112, 24, v131
	v_cndmask_b32_e32 v40, v43, v40, vcc_lo
	v_lshlrev_b32_e32 v185, 2, v39
	v_add_nc_u32_e32 v39, 0x80, v42
	v_add_nc_u32_e32 v192, s10, v187
	buffer_store_dword v0, off, s[56:59], 0 offset:4 ; 4-byte Folded Spill
	buffer_store_dword v1, off, s[56:59], 0 offset:8 ; 4-byte Folded Spill
	v_mov_b32_e32 v47, s23
	v_lshlrev_b64 v[0:1], 1, v[34:35]
	v_mov_b32_e32 v35, s13
	v_or_b32_e32 v148, 8, v131
	v_or_b32_e32 v150, 16, v131
	v_and_b32_e32 v113, 12, v112
	v_lshlrev_b32_e32 v186, 2, v40
	v_lshlrev_b32_e32 v188, 1, v36
	v_and_b32_e32 v190, 28, v42
	v_lshrrev_b32_e32 v191, 5, v39
	v_and_b32_e32 v193, 28, v39
	v_add_nc_u32_e32 v194, s10, v192
	v_mov_b32_e32 v46, s22
	v_mov_b32_e32 v195, 0x10001
	;; [unrolled: 1-line block ×3, first 2 shown]
	s_mul_i32 s17, s8, s10
	s_mov_b32 s9, s22
	s_and_b32 s10, s19, s28
	s_mov_b32 s12, 0xbbbac73d
	buffer_store_dword v0, off, s[56:59], 0 offset:12 ; 4-byte Folded Spill
	buffer_store_dword v1, off, s[56:59], 0 offset:16 ; 4-byte Folded Spill
	s_branch .LBB31_22
.LBB31_21:                              ;   in Loop: Header=BB31_22 Depth=1
	v_add_f32_e32 v0, 0x40051340, v200
	v_add_f32_e32 v1, 0x40051340, v42
	v_ashrrev_i32_e32 v44, 31, v133
	v_mul_u32_u24_e32 v199, 34, v191
	v_mul_hi_u32_u24_e32 v198, 34, v191
	s_add_i32 s2, s8, s2
	v_max3_f32 v36, v34, v0, v1
	v_add_f32_e32 v0, 0x40051340, v201
	v_add_f32_e32 v1, 0x40051340, v43
	s_add_u32 s14, s14, s16
	s_addc_u32 s15, s15, 0
	ds_bpermute_b32 v37, v182, v36
	v_max3_f32 v0, v35, v0, v1
	ds_bpermute_b32 v1, v182, v0
	s_waitcnt lgkmcnt(1)
	v_max_f32_e32 v37, v37, v37
	v_max_f32_e32 v36, v36, v37
	s_waitcnt lgkmcnt(0)
	v_max_f32_e32 v1, v1, v1
	ds_bpermute_b32 v37, v184, v36
	v_max_f32_e32 v0, v0, v1
	ds_bpermute_b32 v1, v184, v0
	s_waitcnt lgkmcnt(1)
	v_max_f32_e32 v37, v37, v37
	v_max_f32_e32 v36, v36, v37
	s_waitcnt lgkmcnt(0)
	v_max_f32_e32 v1, v1, v1
	ds_bpermute_b32 v37, v185, v36
	v_max_f32_e32 v0, v0, v1
	;; [unrolled: 8-line block ×3, first 2 shown]
	ds_bpermute_b32 v1, v186, v0
	s_waitcnt lgkmcnt(1)
	v_max_f32_e32 v37, v37, v37
	v_max_f32_e32 v116, v36, v37
	s_waitcnt lgkmcnt(0)
	v_max_f32_e32 v1, v1, v1
	v_sub_f32_e32 v38, v34, v116
	v_max_f32_e32 v117, v0, v1
	v_mul_f32_e32 v0, 0x3fb8aa3b, v38
	v_cmp_ngt_f32_e32 vcc_lo, 0xc2ce8ed0, v38
	v_sub_f32_e32 v1, v35, v117
	v_fma_f32 v34, 0x3fb8aa3b, v38, -v0
	v_rndne_f32_e32 v35, v0
	v_mul_f32_e32 v36, 0x3fb8aa3b, v1
	v_fmac_f32_e32 v34, 0x32a5705f, v38
	v_sub_f32_e32 v0, v0, v35
	v_fma_f32 v37, 0x3fb8aa3b, v1, -v36
	v_rndne_f32_e32 v39, v36
	v_cvt_i32_f32_e32 v40, v35
	v_add_f32_e32 v0, v0, v34
	v_fmac_f32_e32 v37, 0x32a5705f, v1
	v_sub_f32_e32 v34, v36, v39
	v_cvt_i32_f32_e32 v39, v39
	v_exp_f32_e32 v0, v0
	v_add_f32_e32 v34, v34, v37
	v_exp_f32_e32 v41, v34
	ds_read_b128 v[34:37], v129
	ds_read_b128 v[118:121], v129 offset:16
	v_ldexp_f32 v0, v0, v40
	buffer_load_dword v40, off, s[56:59], 0 ; 4-byte Folded Reload
	v_cndmask_b32_e32 v0, 0, v0, vcc_lo
	v_cmp_nlt_f32_e32 vcc_lo, 0x42b17218, v38
	v_ldexp_f32 v39, v41, v39
	v_cndmask_b32_e32 v122, 0x7f800000, v0, vcc_lo
	v_cmp_ngt_f32_e32 vcc_lo, 0xc2ce8ed0, v1
	v_cvt_f16_f32_e32 v38, v122
	v_cndmask_b32_e32 v0, 0, v39, vcc_lo
	v_add_co_u32 v41, vcc_lo, s3, v132
	s_waitcnt vmcnt(0)
	v_mul_u32_u24_e32 v197, 34, v40
	v_mul_hi_u32_u24_e32 v196, 34, v40
	v_ashrrev_i32_e32 v40, 31, v132
	v_add_co_ci_u32_e64 v45, null, s11, v40, vcc_lo
	v_cmp_nlt_f32_e32 vcc_lo, 0x42b17218, v1
	v_cndmask_b32_e32 v123, 0x7f800000, v0, vcc_lo
	v_mul_u32_u24_sdwa v0, v38, v195 dst_sel:DWORD dst_unused:UNUSED_PAD src0_sel:WORD_0 src1_sel:DWORD
	v_add_co_u32 v1, vcc_lo, s3, v133
	v_add_co_ci_u32_e64 v112, null, s11, v44, vcc_lo
	v_cvt_f16_f32_e32 v40, v123
	v_add_co_u32 v38, vcc_lo, v41, v197
	v_add_co_ci_u32_e64 v39, null, v45, v196, vcc_lo
	s_waitcnt lgkmcnt(1)
	v_pk_mul_f16 v34, v34, v0
	v_pk_mul_f16 v35, v35, v0
	;; [unrolled: 1-line block ×4, first 2 shown]
	v_mul_u32_u24_sdwa v0, v40, v195 dst_sel:DWORD dst_unused:UNUSED_PAD src0_sel:WORD_0 src1_sel:DWORD
	v_add_co_u32 v40, vcc_lo, v41, v199
	v_add_co_ci_u32_e64 v41, null, v45, v198, vcc_lo
	v_add_co_u32 v44, vcc_lo, v38, v190
	v_add_co_ci_u32_e64 v45, null, 0, v39, vcc_lo
	s_waitcnt lgkmcnt(0)
	v_pk_mul_f16 v204, v118, v0
	v_add_co_u32 v118, vcc_lo, v1, v197
	global_load_dword v44, v[44:45], off offset:2
	v_pk_mul_f16 v205, v119, v0
	v_pk_mul_f16 v202, v120, v0
	v_add_co_ci_u32_e64 v119, null, v112, v196, vcc_lo
	v_add_co_u32 v120, vcc_lo, v1, v199
	v_pk_mul_f16 v203, v121, v0
	v_add_co_ci_u32_e64 v121, null, v112, v198, vcc_lo
	v_add_co_u32 v206, vcc_lo, v40, v193
	v_add_co_ci_u32_e64 v207, null, 0, v41, vcc_lo
	global_load_ushort v0, v[40:41], off
	v_add_co_u32 v40, vcc_lo, v120, v193
	v_add_co_ci_u32_e64 v41, null, 0, v121, vcc_lo
	global_load_dword v1, v[40:41], off offset:2
	v_add_co_u32 v40, vcc_lo, v118, v190
	v_add_co_ci_u32_e64 v41, null, 0, v119, vcc_lo
	s_clause 0x2
	global_load_dword v112, v[40:41], off offset:2
	global_load_dword v113, v[206:207], off offset:2
	global_load_ushort v38, v[38:39], off
	v_cndmask_b32_e64 v39, v42, v200, s1
	v_cndmask_b32_e64 v41, v43, v201, s1
	v_sub_f32_e32 v39, v39, v116
	v_sub_f32_e32 v41, v41, v117
	v_mul_f32_e32 v40, 0x3fb8aa3b, v39
	v_cmp_ngt_f32_e32 vcc_lo, 0xc2ce8ed0, v39
	v_fma_f32 v42, 0x3fb8aa3b, v39, -v40
	v_rndne_f32_e32 v43, v40
	v_fmac_f32_e32 v42, 0x32a5705f, v39
	v_sub_f32_e32 v40, v40, v43
	v_cvt_i32_f32_e32 v43, v43
	v_add_f32_e32 v40, v40, v42
	v_mul_f32_e32 v42, 0x3fb8aa3b, v41
	v_exp_f32_e32 v40, v40
	v_fma_f32 v45, 0x3fb8aa3b, v41, -v42
	v_rndne_f32_e32 v124, v42
	v_fmac_f32_e32 v45, 0x32a5705f, v41
	v_sub_f32_e32 v42, v42, v124
	v_ldexp_f32 v40, v40, v43
	v_cvt_i32_f32_e32 v43, v124
	v_add_f32_e32 v42, v42, v45
	v_cndmask_b32_e32 v40, 0, v40, vcc_lo
	v_cmp_nlt_f32_e32 vcc_lo, 0x42b17218, v39
	v_exp_f32_e32 v42, v42
	v_cndmask_b32_e32 v200, 0x7f800000, v40, vcc_lo
	v_cmp_ngt_f32_e32 vcc_lo, 0xc2ce8ed0, v41
	v_cvt_f16_f32_e32 v40, v200
	v_ldexp_f32 v42, v42, v43
	v_fma_f32 v46, v122, v46, v200
	ds_write_b16 v128, v40
	v_cndmask_b32_e32 v39, 0, v42, vcc_lo
	v_cmp_nlt_f32_e32 vcc_lo, 0x42b17218, v41
	v_cndmask_b32_e32 v201, 0x7f800000, v39, vcc_lo
	v_fma_f32 v47, v123, v47, v201
	s_waitcnt vmcnt(5)
	v_pk_lshrrev_b16 v41, 8, v44 op_sel:[1,0] op_sel_hi:[0,0]
	v_pk_lshrrev_b16 v42, 8, v44 op_sel:[1,1] op_sel_hi:[0,1]
	v_lshrrev_b32_e32 v40, 16, v41
	v_cvt_f16_i16_sdwa v41, sext(v41) dst_sel:DWORD dst_unused:UNUSED_PAD src0_sel:BYTE_0
	v_cvt_f16_i16_sdwa v40, sext(v40) dst_sel:DWORD dst_unused:UNUSED_PAD src0_sel:BYTE_0
	s_waitcnt vmcnt(4)
	v_mul_u32_u24_e32 v0, 0x10001, v0
	v_pack_b32_f16 v40, v41, v40
	v_lshrrev_b32_e32 v41, 16, v42
	v_cvt_f16_i16_sdwa v42, sext(v42) dst_sel:DWORD dst_unused:UNUSED_PAD src0_sel:BYTE_0
	v_cvt_f16_i16_sdwa v41, sext(v41) dst_sel:DWORD dst_unused:UNUSED_PAD src0_sel:BYTE_0
	v_pack_b32_f16 v39, v42, v41
	v_cvt_f16_f32_e32 v41, v201
	ds_write_b16 v128, v41 offset:256
	ds_write_b128 v129, v[34:37]
	s_waitcnt vmcnt(0)
	v_mul_u32_u24_e32 v38, 0x10001, v38
	v_pk_mul_f16 v124, v40, v38
	v_pk_mul_f16 v125, v39, v38
	ds_read_b128 v[206:209], v188
	ds_read_b128 v[38:41], v188 offset:16
	s_waitcnt lgkmcnt(1)
	v_mul_u32_u24_sdwa v126, v206, v195 dst_sel:DWORD dst_unused:UNUSED_PAD src0_sel:WORD_0 src1_sel:DWORD
	v_pk_fma_f16 v130, v124, v126, v34
	v_pk_fma_f16 v147, v125, v126, v35
	ds_read_b128 v[42:45], v188 offset:256
	ds_read_b128 v[34:37], v188 offset:272
	s_waitcnt lgkmcnt(1)
	v_mul_u32_u24_sdwa v151, v42, v195 dst_sel:DWORD dst_unused:UNUSED_PAD src0_sel:WORD_0 src1_sel:DWORD
	v_mul_u32_u24_sdwa v42, v42, v195 dst_sel:DWORD dst_unused:UNUSED_PAD src0_sel:WORD_1 src1_sel:DWORD
	v_pk_fma_f16 v210, v124, v151, v204
	v_pk_lshrrev_b16 v124, 8, v113 op_sel:[1,0] op_sel_hi:[0,0]
	v_pk_fma_f16 v211, v125, v151, v205
	v_pk_lshrrev_b16 v113, 8, v113 op_sel:[1,1] op_sel_hi:[0,1]
	v_lshrrev_b32_e32 v125, 16, v124
	v_cvt_f16_i16_sdwa v124, sext(v124) dst_sel:DWORD dst_unused:UNUSED_PAD src0_sel:BYTE_0
	v_cvt_f16_i16_sdwa v125, sext(v125) dst_sel:DWORD dst_unused:UNUSED_PAD src0_sel:BYTE_0
	v_pack_b32_f16 v124, v124, v125
	v_lshrrev_b32_e32 v125, 16, v113
	v_cvt_f16_i16_sdwa v113, sext(v113) dst_sel:DWORD dst_unused:UNUSED_PAD src0_sel:BYTE_0
	v_pk_mul_f16 v124, v124, v0
	v_cvt_f16_i16_sdwa v125, sext(v125) dst_sel:DWORD dst_unused:UNUSED_PAD src0_sel:BYTE_0
	v_pk_fma_f16 v212, v124, v151, v202
	v_pack_b32_f16 v113, v113, v125
	v_pk_mul_f16 v0, v113, v0
	s_clause 0x1
	global_load_ushort v113, v[118:119], off
	global_load_ushort v118, v[120:121], off
	v_pk_lshrrev_b16 v119, 8, v112 op_sel:[1,0] op_sel_hi:[0,0]
	v_pk_lshrrev_b16 v112, 8, v112 op_sel:[1,1] op_sel_hi:[0,1]
	v_pk_fma_f16 v213, v0, v151, v203
	ds_read_b64 v[202:203], v129 offset:8
	v_lshrrev_b32_e32 v120, 16, v119
	v_cvt_f16_i16_sdwa v119, sext(v119) dst_sel:DWORD dst_unused:UNUSED_PAD src0_sel:BYTE_0
	ds_write_b128 v129, v[210:213] offset:16
	v_cvt_f16_i16_sdwa v120, sext(v120) dst_sel:DWORD dst_unused:UNUSED_PAD src0_sel:BYTE_0
	v_pack_b32_f16 v119, v119, v120
	v_lshrrev_b32_e32 v120, 16, v112
	v_cvt_f16_i16_sdwa v112, sext(v112) dst_sel:DWORD dst_unused:UNUSED_PAD src0_sel:BYTE_0
	v_cvt_f16_i16_sdwa v120, sext(v120) dst_sel:DWORD dst_unused:UNUSED_PAD src0_sel:BYTE_0
	s_waitcnt lgkmcnt(1)
	v_pk_fma_f16 v0, v0, v126, v203
	v_pack_b32_f16 v112, v112, v120
	v_pk_lshrrev_b16 v120, 8, v1 op_sel:[1,0] op_sel_hi:[0,0]
	v_pk_lshrrev_b16 v1, 8, v1 op_sel:[1,1] op_sel_hi:[0,1]
	v_lshrrev_b32_e32 v121, 16, v120
	v_cvt_f16_i16_sdwa v120, sext(v120) dst_sel:DWORD dst_unused:UNUSED_PAD src0_sel:BYTE_0
	v_cvt_f16_i16_sdwa v121, sext(v121) dst_sel:DWORD dst_unused:UNUSED_PAD src0_sel:BYTE_0
	v_pack_b32_f16 v120, v120, v121
	v_lshrrev_b32_e32 v121, 16, v1
	v_cvt_f16_i16_sdwa v1, sext(v1) dst_sel:DWORD dst_unused:UNUSED_PAD src0_sel:BYTE_0
	v_cvt_f16_i16_sdwa v121, sext(v121) dst_sel:DWORD dst_unused:UNUSED_PAD src0_sel:BYTE_0
	v_pack_b32_f16 v1, v1, v121
	s_waitcnt vmcnt(1)
	v_mul_u32_u24_e32 v113, 0x10001, v113
	v_pk_mul_f16 v125, v119, v113
	v_pk_mul_f16 v112, v112, v113
	s_waitcnt vmcnt(0)
	v_mul_u32_u24_e32 v113, 0x10001, v118
	v_pk_fma_f16 v118, v125, v42, v210
	v_pk_fma_f16 v119, v112, v42, v211
	v_pk_mul_f16 v151, v120, v113
	v_pk_mul_f16 v1, v1, v113
	v_mul_u32_u24_sdwa v113, v206, v195 dst_sel:DWORD dst_unused:UNUSED_PAD src0_sel:WORD_1 src1_sel:DWORD
	v_pk_fma_f16 v120, v151, v42, v212
	v_pk_fma_f16 v121, v1, v42, v213
	;; [unrolled: 1-line block ×3, first 2 shown]
	v_ashrrev_i32_e32 v0, 31, v134
	v_add_co_u32 v1, vcc_lo, s3, v134
	v_pk_fma_f16 v42, v124, v126, v202
	v_pk_fma_f16 v203, v112, v113, v147
	v_add_co_ci_u32_e64 v0, null, s11, v0, vcc_lo
	v_add_co_u32 v210, vcc_lo, v1, v197
	v_pk_fma_f16 v204, v151, v113, v42
	v_add_co_ci_u32_e64 v211, null, v0, v196, vcc_lo
	v_add_co_u32 v212, vcc_lo, v210, v190
	v_pk_fma_f16 v202, v125, v113, v130
	v_add_co_ci_u32_e64 v213, null, 0, v211, vcc_lo
	global_load_dword v42, v[212:213], off offset:2
	v_add_co_u32 v212, vcc_lo, v1, v199
	v_add_co_ci_u32_e64 v213, null, v0, v198, vcc_lo
	v_ashrrev_i32_e32 v1, 31, v135
	v_add_co_u32 v214, vcc_lo, v212, v193
	v_add_co_ci_u32_e64 v215, null, 0, v213, vcc_lo
	v_add_co_u32 v112, vcc_lo, s3, v135
	v_add_co_ci_u32_e64 v1, null, s11, v1, vcc_lo
	global_load_dword v0, v[214:215], off offset:2
	v_add_co_u32 v214, vcc_lo, v112, v197
	v_add_co_ci_u32_e64 v215, null, v1, v196, vcc_lo
	v_add_co_u32 v216, vcc_lo, v112, v199
	v_add_co_ci_u32_e64 v217, null, v1, v198, vcc_lo
	;; [unrolled: 2-line block ×3, first 2 shown]
	global_load_ushort v1, v[214:215], off
	v_add_co_u32 v214, vcc_lo, v216, v193
	v_add_co_ci_u32_e64 v215, null, 0, v217, vcc_lo
	s_clause 0x3
	global_load_dword v112, v[214:215], off offset:2
	global_load_dword v113, v[218:219], off offset:2
	global_load_ushort v124, v[212:213], off
	global_load_ushort v125, v[210:211], off
	ds_write_b128 v129, v[202:205]
	ds_write_b128 v129, v[118:121] offset:16
	s_waitcnt vmcnt(6)
	v_pk_lshrrev_b16 v126, 8, v42 op_sel:[1,0] op_sel_hi:[0,0]
	v_pk_lshrrev_b16 v42, 8, v42 op_sel:[1,1] op_sel_hi:[0,1]
	v_lshrrev_b32_e32 v130, 16, v126
	v_cvt_f16_i16_sdwa v126, sext(v126) dst_sel:DWORD dst_unused:UNUSED_PAD src0_sel:BYTE_0
	v_cvt_f16_i16_sdwa v130, sext(v130) dst_sel:DWORD dst_unused:UNUSED_PAD src0_sel:BYTE_0
	v_pack_b32_f16 v126, v126, v130
	v_lshrrev_b32_e32 v130, 16, v42
	v_cvt_f16_i16_sdwa v42, sext(v42) dst_sel:DWORD dst_unused:UNUSED_PAD src0_sel:BYTE_0
	v_cvt_f16_i16_sdwa v130, sext(v130) dst_sel:DWORD dst_unused:UNUSED_PAD src0_sel:BYTE_0
	v_pack_b32_f16 v42, v42, v130
	s_waitcnt vmcnt(5)
	v_pk_lshrrev_b16 v130, 8, v0 op_sel:[1,0] op_sel_hi:[0,0]
	v_pk_lshrrev_b16 v0, 8, v0 op_sel:[1,1] op_sel_hi:[0,1]
	s_waitcnt vmcnt(4)
	v_mul_u32_u24_e32 v1, 0x10001, v1
	v_lshrrev_b32_e32 v147, 16, v130
	v_cvt_f16_i16_sdwa v130, sext(v130) dst_sel:DWORD dst_unused:UNUSED_PAD src0_sel:BYTE_0
	s_waitcnt vmcnt(1)
	v_mul_u32_u24_e32 v124, 0x10001, v124
	s_waitcnt vmcnt(0)
	v_mul_u32_u24_e32 v125, 0x10001, v125
	v_cvt_f16_i16_sdwa v147, sext(v147) dst_sel:DWORD dst_unused:UNUSED_PAD src0_sel:BYTE_0
	v_pk_mul_f16 v126, v126, v125
	v_pk_mul_f16 v42, v42, v125
	v_pack_b32_f16 v130, v130, v147
	v_lshrrev_b32_e32 v147, 16, v0
	v_cvt_f16_i16_sdwa v0, sext(v0) dst_sel:DWORD dst_unused:UNUSED_PAD src0_sel:BYTE_0
	v_pk_mul_f16 v125, v130, v124
	v_cvt_f16_i16_sdwa v147, sext(v147) dst_sel:DWORD dst_unused:UNUSED_PAD src0_sel:BYTE_0
	v_mul_u32_u24_sdwa v130, v34, v195 dst_sel:DWORD dst_unused:UNUSED_PAD src0_sel:WORD_0 src1_sel:DWORD
	v_mul_u32_u24_sdwa v34, v34, v195 dst_sel:DWORD dst_unused:UNUSED_PAD src0_sel:WORD_1 src1_sel:DWORD
	v_pack_b32_f16 v0, v0, v147
	v_pk_mul_f16 v0, v0, v124
	v_mul_u32_u24_sdwa v124, v207, v195 dst_sel:DWORD dst_unused:UNUSED_PAD src0_sel:WORD_0 src1_sel:DWORD
	v_pk_fma_f16 v210, v126, v124, v202
	v_pk_fma_f16 v211, v42, v124, v203
	;; [unrolled: 1-line block ×4, first 2 shown]
	v_mul_u32_u24_sdwa v124, v43, v195 dst_sel:DWORD dst_unused:UNUSED_PAD src0_sel:WORD_0 src1_sel:DWORD
	v_mul_u32_u24_sdwa v43, v43, v195 dst_sel:DWORD dst_unused:UNUSED_PAD src0_sel:WORD_1 src1_sel:DWORD
	ds_write_b128 v129, v[210:213]
	v_pk_fma_f16 v205, v0, v124, v121
	global_load_ushort v0, v[216:217], off
	v_pk_fma_f16 v203, v42, v124, v119
	v_pk_lshrrev_b16 v42, 8, v113 op_sel:[1,0] op_sel_hi:[0,0]
	v_pk_fma_f16 v202, v126, v124, v118
	v_pk_lshrrev_b16 v113, 8, v113 op_sel:[1,1] op_sel_hi:[0,1]
	v_pk_fma_f16 v204, v125, v124, v120
	v_lshrrev_b32_e32 v118, 16, v42
	v_cvt_f16_i16_sdwa v42, sext(v42) dst_sel:DWORD dst_unused:UNUSED_PAD src0_sel:BYTE_0
	ds_write_b128 v129, v[202:205] offset:16
	v_cvt_f16_i16_sdwa v118, sext(v118) dst_sel:DWORD dst_unused:UNUSED_PAD src0_sel:BYTE_0
	v_pack_b32_f16 v42, v42, v118
	v_lshrrev_b32_e32 v118, 16, v113
	v_cvt_f16_i16_sdwa v113, sext(v113) dst_sel:DWORD dst_unused:UNUSED_PAD src0_sel:BYTE_0
	v_pk_mul_f16 v42, v42, v1
	v_cvt_f16_i16_sdwa v118, sext(v118) dst_sel:DWORD dst_unused:UNUSED_PAD src0_sel:BYTE_0
	v_pack_b32_f16 v113, v113, v118
	v_pk_lshrrev_b16 v118, 8, v112 op_sel:[1,0] op_sel_hi:[0,0]
	v_pk_lshrrev_b16 v112, 8, v112 op_sel:[1,1] op_sel_hi:[0,1]
	v_pk_mul_f16 v1, v113, v1
	v_lshrrev_b32_e32 v119, 16, v118
	v_cvt_f16_i16_sdwa v118, sext(v118) dst_sel:DWORD dst_unused:UNUSED_PAD src0_sel:BYTE_0
	v_cvt_f16_i16_sdwa v119, sext(v119) dst_sel:DWORD dst_unused:UNUSED_PAD src0_sel:BYTE_0
	v_pack_b32_f16 v118, v118, v119
	v_lshrrev_b32_e32 v119, 16, v112
	v_cvt_f16_i16_sdwa v112, sext(v112) dst_sel:DWORD dst_unused:UNUSED_PAD src0_sel:BYTE_0
	v_cvt_f16_i16_sdwa v119, sext(v119) dst_sel:DWORD dst_unused:UNUSED_PAD src0_sel:BYTE_0
	v_pack_b32_f16 v112, v112, v119
	s_waitcnt vmcnt(0)
	v_mul_u32_u24_e32 v0, 0x10001, v0
	v_pk_mul_f16 v113, v118, v0
	v_pk_mul_f16 v0, v112, v0
	v_mul_u32_u24_sdwa v112, v207, v195 dst_sel:DWORD dst_unused:UNUSED_PAD src0_sel:WORD_1 src1_sel:DWORD
	v_pk_fma_f16 v121, v0, v112, v213
	v_pk_fma_f16 v213, v0, v43, v205
	v_ashrrev_i32_e32 v0, 31, v136
	v_pk_fma_f16 v119, v1, v112, v211
	v_pk_fma_f16 v211, v1, v43, v203
	v_add_co_u32 v1, vcc_lo, s3, v136
	v_add_co_ci_u32_e64 v0, null, s11, v0, vcc_lo
	v_pk_fma_f16 v118, v42, v112, v210
	v_pk_fma_f16 v210, v42, v43, v202
	v_add_co_u32 v42, vcc_lo, v1, v197
	v_pk_fma_f16 v120, v113, v112, v212
	v_pk_fma_f16 v212, v113, v43, v204
	v_add_co_ci_u32_e64 v43, null, v0, v196, vcc_lo
	v_add_co_u32 v202, vcc_lo, v42, v190
	v_add_co_ci_u32_e64 v203, null, 0, v43, vcc_lo
	global_load_dword v112, v[202:203], off offset:2
	v_add_co_u32 v202, vcc_lo, v1, v199
	v_add_co_ci_u32_e64 v203, null, v0, v198, vcc_lo
	v_ashrrev_i32_e32 v0, 31, v137
	v_add_co_u32 v1, vcc_lo, s3, v137
	v_add_co_ci_u32_e64 v0, null, s11, v0, vcc_lo
	v_add_co_u32 v206, vcc_lo, v1, v197
	v_add_co_ci_u32_e64 v207, null, v0, v196, vcc_lo
	;; [unrolled: 2-line block ×4, first 2 shown]
	global_load_ushort v0, v[202:203], off
	v_add_co_u32 v202, vcc_lo, v214, v193
	v_add_co_ci_u32_e64 v203, null, 0, v215, vcc_lo
	global_load_dword v1, v[202:203], off offset:2
	v_add_co_u32 v202, vcc_lo, v206, v190
	v_add_co_ci_u32_e64 v203, null, 0, v207, vcc_lo
	s_clause 0x2
	global_load_dword v113, v[202:203], off offset:2
	global_load_dword v124, v[204:205], off offset:2
	global_load_ushort v42, v[42:43], off
	ds_write_b128 v129, v[118:121]
	ds_write_b128 v129, v[210:213] offset:16
	s_waitcnt vmcnt(5)
	v_pk_lshrrev_b16 v43, 8, v112 op_sel:[1,0] op_sel_hi:[0,0]
	v_pk_lshrrev_b16 v112, 8, v112 op_sel:[1,1] op_sel_hi:[0,1]
	v_lshrrev_b32_e32 v125, 16, v43
	v_cvt_f16_i16_sdwa v43, sext(v43) dst_sel:DWORD dst_unused:UNUSED_PAD src0_sel:BYTE_0
	v_cvt_f16_i16_sdwa v125, sext(v125) dst_sel:DWORD dst_unused:UNUSED_PAD src0_sel:BYTE_0
	v_pack_b32_f16 v43, v43, v125
	v_lshrrev_b32_e32 v125, 16, v112
	v_cvt_f16_i16_sdwa v112, sext(v112) dst_sel:DWORD dst_unused:UNUSED_PAD src0_sel:BYTE_0
	v_cvt_f16_i16_sdwa v125, sext(v125) dst_sel:DWORD dst_unused:UNUSED_PAD src0_sel:BYTE_0
	s_waitcnt vmcnt(4)
	v_mul_u32_u24_e32 v0, 0x10001, v0
	v_pack_b32_f16 v112, v112, v125
	s_waitcnt vmcnt(0)
	v_mul_u32_u24_e32 v42, 0x10001, v42
	v_pk_mul_f16 v43, v43, v42
	v_pk_mul_f16 v42, v112, v42
	v_pk_lshrrev_b16 v112, 8, v124 op_sel:[1,0] op_sel_hi:[0,0]
	v_pk_lshrrev_b16 v124, 8, v124 op_sel:[1,1] op_sel_hi:[0,1]
	v_lshrrev_b32_e32 v125, 16, v112
	v_cvt_f16_i16_sdwa v112, sext(v112) dst_sel:DWORD dst_unused:UNUSED_PAD src0_sel:BYTE_0
	v_cvt_f16_i16_sdwa v125, sext(v125) dst_sel:DWORD dst_unused:UNUSED_PAD src0_sel:BYTE_0
	v_pack_b32_f16 v112, v112, v125
	v_lshrrev_b32_e32 v125, 16, v124
	v_cvt_f16_i16_sdwa v124, sext(v124) dst_sel:DWORD dst_unused:UNUSED_PAD src0_sel:BYTE_0
	v_pk_mul_f16 v112, v112, v0
	v_cvt_f16_i16_sdwa v125, sext(v125) dst_sel:DWORD dst_unused:UNUSED_PAD src0_sel:BYTE_0
	v_pack_b32_f16 v124, v124, v125
	v_pk_mul_f16 v0, v124, v0
	v_mul_u32_u24_sdwa v124, v208, v195 dst_sel:DWORD dst_unused:UNUSED_PAD src0_sel:WORD_0 src1_sel:DWORD
	v_pk_fma_f16 v205, v0, v124, v121
	v_mul_u32_u24_sdwa v121, v44, v195 dst_sel:DWORD dst_unused:UNUSED_PAD src0_sel:WORD_0 src1_sel:DWORD
	v_pk_fma_f16 v202, v43, v124, v118
	v_pk_fma_f16 v203, v42, v124, v119
	;; [unrolled: 1-line block ×7, first 2 shown]
	s_clause 0x1
	global_load_ushort v0, v[206:207], off
	global_load_ushort v42, v[214:215], off
	v_pk_lshrrev_b16 v43, 8, v113 op_sel:[1,0] op_sel_hi:[0,0]
	ds_write_b128 v129, v[202:205]
	ds_write_b128 v129, v[118:121] offset:16
	v_lshrrev_b32_e32 v112, 16, v43
	v_cvt_f16_i16_sdwa v43, sext(v43) dst_sel:DWORD dst_unused:UNUSED_PAD src0_sel:BYTE_0
	v_cvt_f16_i16_sdwa v112, sext(v112) dst_sel:DWORD dst_unused:UNUSED_PAD src0_sel:BYTE_0
	v_pack_b32_f16 v43, v43, v112
	v_pk_lshrrev_b16 v112, 8, v113 op_sel:[1,1] op_sel_hi:[0,1]
	v_lshrrev_b32_e32 v113, 16, v112
	v_cvt_f16_i16_sdwa v112, sext(v112) dst_sel:DWORD dst_unused:UNUSED_PAD src0_sel:BYTE_0
	v_cvt_f16_i16_sdwa v113, sext(v113) dst_sel:DWORD dst_unused:UNUSED_PAD src0_sel:BYTE_0
	v_pack_b32_f16 v112, v112, v113
	s_waitcnt vmcnt(1)
	v_mul_u32_u24_e32 v0, 0x10001, v0
	s_waitcnt vmcnt(0)
	v_mul_u32_u24_e32 v42, 0x10001, v42
	v_pk_mul_f16 v43, v43, v0
	v_pk_mul_f16 v0, v112, v0
	v_pk_lshrrev_b16 v112, 8, v1 op_sel:[1,0] op_sel_hi:[0,0]
	v_pk_lshrrev_b16 v1, 8, v1 op_sel:[1,1] op_sel_hi:[0,1]
	v_lshrrev_b32_e32 v113, 16, v112
	v_cvt_f16_i16_sdwa v112, sext(v112) dst_sel:DWORD dst_unused:UNUSED_PAD src0_sel:BYTE_0
	v_cvt_f16_i16_sdwa v113, sext(v113) dst_sel:DWORD dst_unused:UNUSED_PAD src0_sel:BYTE_0
	v_pack_b32_f16 v112, v112, v113
	v_lshrrev_b32_e32 v113, 16, v1
	v_cvt_f16_i16_sdwa v1, sext(v1) dst_sel:DWORD dst_unused:UNUSED_PAD src0_sel:BYTE_0
	v_pk_mul_f16 v112, v112, v42
	v_cvt_f16_i16_sdwa v113, sext(v113) dst_sel:DWORD dst_unused:UNUSED_PAD src0_sel:BYTE_0
	v_pack_b32_f16 v1, v1, v113
	v_pk_mul_f16 v1, v1, v42
	v_mul_u32_u24_sdwa v42, v208, v195 dst_sel:DWORD dst_unused:UNUSED_PAD src0_sel:WORD_1 src1_sel:DWORD
	v_pk_fma_f16 v210, v43, v42, v202
	v_pk_fma_f16 v211, v0, v42, v203
	;; [unrolled: 1-line block ×4, first 2 shown]
	v_mul_u32_u24_sdwa v42, v44, v195 dst_sel:DWORD dst_unused:UNUSED_PAD src0_sel:WORD_1 src1_sel:DWORD
	v_pk_fma_f16 v203, v0, v42, v119
	v_ashrrev_i32_e32 v0, 31, v138
	v_pk_fma_f16 v205, v1, v42, v121
	v_add_co_u32 v1, vcc_lo, s3, v138
	v_pk_fma_f16 v202, v43, v42, v118
	v_add_co_ci_u32_e64 v0, null, s11, v0, vcc_lo
	v_pk_fma_f16 v204, v112, v42, v120
	v_add_co_u32 v42, vcc_lo, v1, v197
	v_add_co_ci_u32_e64 v43, null, v0, v196, vcc_lo
	v_add_co_u32 v118, vcc_lo, v42, v190
	v_add_co_ci_u32_e64 v119, null, 0, v43, vcc_lo
	global_load_dword v44, v[118:119], off offset:2
	v_add_co_u32 v118, vcc_lo, v1, v199
	v_add_co_ci_u32_e64 v119, null, v0, v198, vcc_lo
	v_ashrrev_i32_e32 v1, 31, v139
	v_add_co_u32 v120, vcc_lo, v118, v193
	v_add_co_ci_u32_e64 v121, null, 0, v119, vcc_lo
	v_add_co_u32 v112, vcc_lo, s3, v139
	v_add_co_ci_u32_e64 v1, null, s11, v1, vcc_lo
	global_load_dword v0, v[120:121], off offset:2
	v_add_co_u32 v120, vcc_lo, v112, v197
	v_add_co_ci_u32_e64 v121, null, v1, v196, vcc_lo
	v_add_co_u32 v206, vcc_lo, v112, v199
	v_add_co_ci_u32_e64 v207, null, v1, v198, vcc_lo
	;; [unrolled: 2-line block ×3, first 2 shown]
	global_load_ushort v1, v[120:121], off
	v_add_co_u32 v120, vcc_lo, v206, v193
	v_add_co_ci_u32_e64 v121, null, 0, v207, vcc_lo
	s_clause 0x3
	global_load_dword v112, v[120:121], off offset:2
	global_load_dword v113, v[214:215], off offset:2
	global_load_ushort v118, v[118:119], off
	global_load_ushort v42, v[42:43], off
	ds_write_b128 v129, v[210:213]
	ds_write_b128 v129, v[202:205] offset:16
	s_waitcnt vmcnt(6)
	v_pk_lshrrev_b16 v43, 8, v44 op_sel:[1,0] op_sel_hi:[0,0]
	v_pk_lshrrev_b16 v44, 8, v44 op_sel:[1,1] op_sel_hi:[0,1]
	v_lshrrev_b32_e32 v119, 16, v43
	v_cvt_f16_i16_sdwa v43, sext(v43) dst_sel:DWORD dst_unused:UNUSED_PAD src0_sel:BYTE_0
	v_cvt_f16_i16_sdwa v119, sext(v119) dst_sel:DWORD dst_unused:UNUSED_PAD src0_sel:BYTE_0
	v_pack_b32_f16 v43, v43, v119
	v_lshrrev_b32_e32 v119, 16, v44
	v_cvt_f16_i16_sdwa v44, sext(v44) dst_sel:DWORD dst_unused:UNUSED_PAD src0_sel:BYTE_0
	v_cvt_f16_i16_sdwa v119, sext(v119) dst_sel:DWORD dst_unused:UNUSED_PAD src0_sel:BYTE_0
	v_pack_b32_f16 v44, v44, v119
	s_waitcnt vmcnt(5)
	v_pk_lshrrev_b16 v119, 8, v0 op_sel:[1,0] op_sel_hi:[0,0]
	v_pk_lshrrev_b16 v0, 8, v0 op_sel:[1,1] op_sel_hi:[0,1]
	s_waitcnt vmcnt(4)
	v_mul_u32_u24_e32 v1, 0x10001, v1
	v_lshrrev_b32_e32 v120, 16, v119
	v_cvt_f16_i16_sdwa v119, sext(v119) dst_sel:DWORD dst_unused:UNUSED_PAD src0_sel:BYTE_0
	s_waitcnt vmcnt(0)
	v_mul_u32_u24_e32 v42, 0x10001, v42
	v_cvt_f16_i16_sdwa v120, sext(v120) dst_sel:DWORD dst_unused:UNUSED_PAD src0_sel:BYTE_0
	v_pk_mul_f16 v43, v43, v42
	v_pk_mul_f16 v42, v44, v42
	v_pack_b32_f16 v119, v119, v120
	v_lshrrev_b32_e32 v120, 16, v0
	v_cvt_f16_i16_sdwa v0, sext(v0) dst_sel:DWORD dst_unused:UNUSED_PAD src0_sel:BYTE_0
	v_mul_u32_u24_e32 v44, 0x10001, v118
	v_cvt_f16_i16_sdwa v120, sext(v120) dst_sel:DWORD dst_unused:UNUSED_PAD src0_sel:BYTE_0
	v_pk_mul_f16 v124, v119, v44
	v_pack_b32_f16 v0, v0, v120
	v_pk_mul_f16 v0, v0, v44
	v_mul_u32_u24_sdwa v44, v209, v195 dst_sel:DWORD dst_unused:UNUSED_PAD src0_sel:WORD_0 src1_sel:DWORD
	v_pk_fma_f16 v118, v43, v44, v210
	v_pk_fma_f16 v119, v42, v44, v211
	;; [unrolled: 1-line block ×4, first 2 shown]
	v_mul_u32_u24_sdwa v44, v45, v195 dst_sel:DWORD dst_unused:UNUSED_PAD src0_sel:WORD_0 src1_sel:DWORD
	ds_write_b128 v129, v[118:121]
	v_pk_fma_f16 v211, v42, v44, v203
	global_load_ushort v42, v[206:207], off
	v_pk_fma_f16 v210, v43, v44, v202
	v_pk_lshrrev_b16 v43, 8, v113 op_sel:[1,0] op_sel_hi:[0,0]
	v_pk_fma_f16 v212, v124, v44, v204
	v_pk_fma_f16 v213, v0, v44, v205
	v_mul_u32_u24_sdwa v0, v209, v195 dst_sel:DWORD dst_unused:UNUSED_PAD src0_sel:WORD_1 src1_sel:DWORD
	v_lshrrev_b32_e32 v44, 16, v43
	v_cvt_f16_i16_sdwa v43, sext(v43) dst_sel:DWORD dst_unused:UNUSED_PAD src0_sel:BYTE_0
	ds_write_b128 v129, v[210:213] offset:16
	v_cvt_f16_i16_sdwa v44, sext(v44) dst_sel:DWORD dst_unused:UNUSED_PAD src0_sel:BYTE_0
	v_pack_b32_f16 v43, v43, v44
	v_pk_lshrrev_b16 v44, 8, v113 op_sel:[1,1] op_sel_hi:[0,1]
	v_pk_mul_f16 v43, v43, v1
	v_lshrrev_b32_e32 v113, 16, v44
	v_cvt_f16_i16_sdwa v44, sext(v44) dst_sel:DWORD dst_unused:UNUSED_PAD src0_sel:BYTE_0
	v_pk_fma_f16 v202, v43, v0, v118
	v_cvt_f16_i16_sdwa v113, sext(v113) dst_sel:DWORD dst_unused:UNUSED_PAD src0_sel:BYTE_0
	v_pack_b32_f16 v44, v44, v113
	v_pk_mul_f16 v1, v44, v1
	v_pk_lshrrev_b16 v44, 8, v112 op_sel:[1,0] op_sel_hi:[0,0]
	v_pk_lshrrev_b16 v112, 8, v112 op_sel:[1,1] op_sel_hi:[0,1]
	v_pk_fma_f16 v203, v1, v0, v119
	v_lshrrev_b32_e32 v113, 16, v44
	v_cvt_f16_i16_sdwa v44, sext(v44) dst_sel:DWORD dst_unused:UNUSED_PAD src0_sel:BYTE_0
	v_cvt_f16_i16_sdwa v113, sext(v113) dst_sel:DWORD dst_unused:UNUSED_PAD src0_sel:BYTE_0
	v_pack_b32_f16 v44, v44, v113
	v_lshrrev_b32_e32 v113, 16, v112
	v_cvt_f16_i16_sdwa v112, sext(v112) dst_sel:DWORD dst_unused:UNUSED_PAD src0_sel:BYTE_0
	v_cvt_f16_i16_sdwa v113, sext(v113) dst_sel:DWORD dst_unused:UNUSED_PAD src0_sel:BYTE_0
	v_pack_b32_f16 v112, v112, v113
	s_waitcnt vmcnt(0)
	v_mul_u32_u24_e32 v42, 0x10001, v42
	v_pk_mul_f16 v44, v44, v42
	v_pk_mul_f16 v112, v112, v42
	v_pk_fma_f16 v204, v44, v0, v120
	v_pk_fma_f16 v205, v112, v0, v121
	v_mul_u32_u24_sdwa v0, v45, v195 dst_sel:DWORD dst_unused:UNUSED_PAD src0_sel:WORD_1 src1_sel:DWORD
	v_pk_fma_f16 v42, v43, v0, v210
	v_pk_fma_f16 v43, v1, v0, v211
	;; [unrolled: 1-line block ×4, first 2 shown]
	v_ashrrev_i32_e32 v0, 31, v140
	v_add_co_u32 v1, vcc_lo, s3, v140
	v_add_co_ci_u32_e64 v0, null, s11, v0, vcc_lo
	v_add_co_u32 v118, vcc_lo, v1, v197
	v_add_co_ci_u32_e64 v119, null, v0, v196, vcc_lo
	;; [unrolled: 2-line block ×3, first 2 shown]
	global_load_dword v112, v[120:121], off offset:2
	v_add_co_u32 v120, vcc_lo, v1, v199
	v_add_co_ci_u32_e64 v121, null, v0, v198, vcc_lo
	v_ashrrev_i32_e32 v1, 31, v141
	v_add_co_u32 v206, vcc_lo, v120, v193
	v_add_co_ci_u32_e64 v207, null, 0, v121, vcc_lo
	v_add_co_u32 v113, vcc_lo, s3, v141
	v_add_co_ci_u32_e64 v1, null, s11, v1, vcc_lo
	global_load_dword v0, v[206:207], off offset:2
	v_add_co_u32 v206, vcc_lo, v113, v197
	v_add_co_ci_u32_e64 v207, null, v1, v196, vcc_lo
	v_add_co_u32 v208, vcc_lo, v113, v199
	v_add_co_ci_u32_e64 v209, null, v1, v198, vcc_lo
	;; [unrolled: 2-line block ×3, first 2 shown]
	global_load_ushort v1, v[206:207], off
	v_add_co_u32 v206, vcc_lo, v208, v193
	v_add_co_ci_u32_e64 v207, null, 0, v209, vcc_lo
	s_clause 0x3
	global_load_dword v113, v[206:207], off offset:2
	global_load_dword v124, v[210:211], off offset:2
	global_load_ushort v120, v[120:121], off
	global_load_ushort v118, v[118:119], off
	ds_write_b128 v129, v[202:205]
	ds_write_b128 v129, v[42:45] offset:16
	s_waitcnt vmcnt(6)
	v_pk_lshrrev_b16 v119, 8, v112 op_sel:[1,0] op_sel_hi:[0,0]
	v_pk_lshrrev_b16 v112, 8, v112 op_sel:[1,1] op_sel_hi:[0,1]
	v_lshrrev_b32_e32 v121, 16, v119
	v_cvt_f16_i16_sdwa v119, sext(v119) dst_sel:DWORD dst_unused:UNUSED_PAD src0_sel:BYTE_0
	v_cvt_f16_i16_sdwa v121, sext(v121) dst_sel:DWORD dst_unused:UNUSED_PAD src0_sel:BYTE_0
	v_pack_b32_f16 v119, v119, v121
	v_lshrrev_b32_e32 v121, 16, v112
	v_cvt_f16_i16_sdwa v112, sext(v112) dst_sel:DWORD dst_unused:UNUSED_PAD src0_sel:BYTE_0
	v_cvt_f16_i16_sdwa v121, sext(v121) dst_sel:DWORD dst_unused:UNUSED_PAD src0_sel:BYTE_0
	v_pack_b32_f16 v112, v112, v121
	s_waitcnt vmcnt(5)
	v_pk_lshrrev_b16 v121, 8, v0 op_sel:[1,0] op_sel_hi:[0,0]
	v_pk_lshrrev_b16 v0, 8, v0 op_sel:[1,1] op_sel_hi:[0,1]
	s_waitcnt vmcnt(4)
	v_mul_u32_u24_e32 v1, 0x10001, v1
	v_lshrrev_b32_e32 v125, 16, v121
	v_cvt_f16_i16_sdwa v121, sext(v121) dst_sel:DWORD dst_unused:UNUSED_PAD src0_sel:BYTE_0
	s_waitcnt vmcnt(0)
	v_mul_u32_u24_e32 v118, 0x10001, v118
	v_cvt_f16_i16_sdwa v125, sext(v125) dst_sel:DWORD dst_unused:UNUSED_PAD src0_sel:BYTE_0
	v_pk_mul_f16 v112, v112, v118
	v_pack_b32_f16 v121, v121, v125
	v_lshrrev_b32_e32 v125, 16, v0
	v_cvt_f16_i16_sdwa v0, sext(v0) dst_sel:DWORD dst_unused:UNUSED_PAD src0_sel:BYTE_0
	v_cvt_f16_i16_sdwa v125, sext(v125) dst_sel:DWORD dst_unused:UNUSED_PAD src0_sel:BYTE_0
	v_pack_b32_f16 v0, v0, v125
	v_pk_mul_f16 v125, v119, v118
	v_mul_u32_u24_e32 v118, 0x10001, v120
	v_pk_mul_f16 v126, v121, v118
	v_pk_mul_f16 v0, v0, v118
	v_mul_u32_u24_sdwa v121, v38, v195 dst_sel:DWORD dst_unused:UNUSED_PAD src0_sel:WORD_0 src1_sel:DWORD
	v_mul_u32_u24_sdwa v38, v38, v195 dst_sel:DWORD dst_unused:UNUSED_PAD src0_sel:WORD_1 src1_sel:DWORD
	v_pk_fma_f16 v118, v125, v121, v202
	v_pk_fma_f16 v119, v112, v121, v203
	;; [unrolled: 1-line block ×5, first 2 shown]
	global_load_ushort v0, v[208:209], off
	v_pk_fma_f16 v202, v125, v130, v42
	v_pk_lshrrev_b16 v42, 8, v124 op_sel:[1,0] op_sel_hi:[0,0]
	v_pk_fma_f16 v203, v112, v130, v43
	v_pk_fma_f16 v204, v126, v130, v44
	ds_write_b128 v129, v[118:121]
	v_lshrrev_b32_e32 v43, 16, v42
	v_cvt_f16_i16_sdwa v42, sext(v42) dst_sel:DWORD dst_unused:UNUSED_PAD src0_sel:BYTE_0
	ds_write_b128 v129, v[202:205] offset:16
	v_cvt_f16_i16_sdwa v43, sext(v43) dst_sel:DWORD dst_unused:UNUSED_PAD src0_sel:BYTE_0
	v_pack_b32_f16 v42, v42, v43
	v_pk_lshrrev_b16 v43, 8, v124 op_sel:[1,1] op_sel_hi:[0,1]
	v_pk_mul_f16 v112, v42, v1
	v_lshrrev_b32_e32 v44, 16, v43
	v_cvt_f16_i16_sdwa v43, sext(v43) dst_sel:DWORD dst_unused:UNUSED_PAD src0_sel:BYTE_0
	v_pk_lshrrev_b16 v42, 8, v113 op_sel:[1,0] op_sel_hi:[0,0]
	v_cvt_f16_i16_sdwa v44, sext(v44) dst_sel:DWORD dst_unused:UNUSED_PAD src0_sel:BYTE_0
	v_pack_b32_f16 v43, v43, v44
	v_pk_mul_f16 v1, v43, v1
	v_lshrrev_b32_e32 v43, 16, v42
	v_cvt_f16_i16_sdwa v42, sext(v42) dst_sel:DWORD dst_unused:UNUSED_PAD src0_sel:BYTE_0
	v_cvt_f16_i16_sdwa v43, sext(v43) dst_sel:DWORD dst_unused:UNUSED_PAD src0_sel:BYTE_0
	v_pack_b32_f16 v42, v42, v43
	v_pk_lshrrev_b16 v43, 8, v113 op_sel:[1,1] op_sel_hi:[0,1]
	v_lshrrev_b32_e32 v44, 16, v43
	v_cvt_f16_i16_sdwa v43, sext(v43) dst_sel:DWORD dst_unused:UNUSED_PAD src0_sel:BYTE_0
	v_cvt_f16_i16_sdwa v44, sext(v44) dst_sel:DWORD dst_unused:UNUSED_PAD src0_sel:BYTE_0
	v_pack_b32_f16 v43, v43, v44
	s_waitcnt vmcnt(0)
	v_mul_u32_u24_e32 v0, 0x10001, v0
	v_pk_mul_f16 v113, v42, v0
	v_pk_mul_f16 v0, v43, v0
	v_pk_fma_f16 v43, v1, v38, v119
	v_pk_fma_f16 v119, v1, v34, v203
	v_add_co_u32 v1, vcc_lo, s3, v142
	v_pk_fma_f16 v45, v0, v38, v121
	v_pk_fma_f16 v121, v0, v34, v205
	v_ashrrev_i32_e32 v0, 31, v142
	v_pk_fma_f16 v42, v112, v38, v118
	v_pk_fma_f16 v118, v112, v34, v202
	;; [unrolled: 1-line block ×4, first 2 shown]
	v_add_co_ci_u32_e64 v0, null, s11, v0, vcc_lo
	v_add_co_u32 v202, vcc_lo, v1, v197
	v_add_co_ci_u32_e64 v203, null, v0, v196, vcc_lo
	v_add_co_u32 v204, vcc_lo, v202, v190
	v_add_co_ci_u32_e64 v205, null, 0, v203, vcc_lo
	global_load_dword v34, v[204:205], off offset:2
	v_add_co_u32 v204, vcc_lo, v1, v199
	v_add_co_ci_u32_e64 v205, null, v0, v198, vcc_lo
	v_ashrrev_i32_e32 v0, 31, v143
	v_add_co_u32 v1, vcc_lo, s3, v143
	v_add_co_ci_u32_e64 v0, null, s11, v0, vcc_lo
	v_add_co_u32 v206, vcc_lo, v1, v197
	v_add_co_ci_u32_e64 v207, null, v0, v196, vcc_lo
	v_add_co_u32 v208, vcc_lo, v1, v199
	v_add_co_ci_u32_e64 v209, null, v0, v198, vcc_lo
	v_add_co_u32 v210, vcc_lo, v204, v193
	v_add_co_ci_u32_e64 v211, null, 0, v205, vcc_lo
	global_load_ushort v0, v[204:205], off
	v_add_co_u32 v204, vcc_lo, v208, v193
	v_add_co_ci_u32_e64 v205, null, 0, v209, vcc_lo
	global_load_dword v1, v[204:205], off offset:2
	v_add_co_u32 v204, vcc_lo, v206, v190
	v_add_co_ci_u32_e64 v205, null, 0, v207, vcc_lo
	s_clause 0x2
	global_load_dword v38, v[204:205], off offset:2
	global_load_dword v112, v[210:211], off offset:2
	global_load_ushort v113, v[202:203], off
	ds_write_b128 v129, v[42:45]
	ds_write_b128 v129, v[118:121] offset:16
	s_waitcnt vmcnt(5)
	v_pk_lshrrev_b16 v124, 8, v34 op_sel:[1,0] op_sel_hi:[0,0]
	v_pk_lshrrev_b16 v34, 8, v34 op_sel:[1,1] op_sel_hi:[0,1]
	v_lshrrev_b32_e32 v125, 16, v124
	v_cvt_f16_i16_sdwa v124, sext(v124) dst_sel:DWORD dst_unused:UNUSED_PAD src0_sel:BYTE_0
	v_cvt_f16_i16_sdwa v125, sext(v125) dst_sel:DWORD dst_unused:UNUSED_PAD src0_sel:BYTE_0
	v_pack_b32_f16 v124, v124, v125
	v_lshrrev_b32_e32 v125, 16, v34
	v_cvt_f16_i16_sdwa v34, sext(v34) dst_sel:DWORD dst_unused:UNUSED_PAD src0_sel:BYTE_0
	v_cvt_f16_i16_sdwa v125, sext(v125) dst_sel:DWORD dst_unused:UNUSED_PAD src0_sel:BYTE_0
	s_waitcnt vmcnt(4)
	v_mul_u32_u24_e32 v0, 0x10001, v0
	v_pack_b32_f16 v34, v34, v125
	s_waitcnt vmcnt(0)
	v_mul_u32_u24_e32 v113, 0x10001, v113
	v_pk_mul_f16 v124, v124, v113
	v_pk_mul_f16 v34, v34, v113
	v_pk_lshrrev_b16 v113, 8, v112 op_sel:[1,0] op_sel_hi:[0,0]
	v_pk_lshrrev_b16 v112, 8, v112 op_sel:[1,1] op_sel_hi:[0,1]
	v_lshrrev_b32_e32 v125, 16, v113
	v_cvt_f16_i16_sdwa v113, sext(v113) dst_sel:DWORD dst_unused:UNUSED_PAD src0_sel:BYTE_0
	v_cvt_f16_i16_sdwa v125, sext(v125) dst_sel:DWORD dst_unused:UNUSED_PAD src0_sel:BYTE_0
	v_pack_b32_f16 v113, v113, v125
	v_lshrrev_b32_e32 v125, 16, v112
	v_cvt_f16_i16_sdwa v112, sext(v112) dst_sel:DWORD dst_unused:UNUSED_PAD src0_sel:BYTE_0
	v_pk_mul_f16 v113, v113, v0
	v_cvt_f16_i16_sdwa v125, sext(v125) dst_sel:DWORD dst_unused:UNUSED_PAD src0_sel:BYTE_0
	v_pack_b32_f16 v112, v112, v125
	v_pk_mul_f16 v0, v112, v0
	v_mul_u32_u24_sdwa v112, v39, v195 dst_sel:DWORD dst_unused:UNUSED_PAD src0_sel:WORD_0 src1_sel:DWORD
	v_pk_fma_f16 v205, v0, v112, v45
	v_mul_u32_u24_sdwa v45, v35, v195 dst_sel:DWORD dst_unused:UNUSED_PAD src0_sel:WORD_0 src1_sel:DWORD
	v_pk_fma_f16 v202, v124, v112, v42
	v_pk_fma_f16 v203, v34, v112, v43
	;; [unrolled: 1-line block ×3, first 2 shown]
	v_pk_lshrrev_b16 v112, 8, v38 op_sel:[1,0] op_sel_hi:[0,0]
	v_pk_fma_f16 v42, v124, v45, v118
	v_pk_fma_f16 v43, v34, v45, v119
	;; [unrolled: 1-line block ×4, first 2 shown]
	s_clause 0x1
	global_load_ushort v0, v[206:207], off
	global_load_ushort v34, v[208:209], off
	v_lshrrev_b32_e32 v113, 16, v112
	v_cvt_f16_i16_sdwa v112, sext(v112) dst_sel:DWORD dst_unused:UNUSED_PAD src0_sel:BYTE_0
	v_pk_lshrrev_b16 v38, 8, v38 op_sel:[1,1] op_sel_hi:[0,1]
	ds_write_b128 v129, v[202:205]
	ds_write_b128 v129, v[42:45] offset:16
	v_cvt_f16_i16_sdwa v113, sext(v113) dst_sel:DWORD dst_unused:UNUSED_PAD src0_sel:BYTE_0
	v_pack_b32_f16 v112, v112, v113
	v_lshrrev_b32_e32 v113, 16, v38
	v_cvt_f16_i16_sdwa v38, sext(v38) dst_sel:DWORD dst_unused:UNUSED_PAD src0_sel:BYTE_0
	v_cvt_f16_i16_sdwa v113, sext(v113) dst_sel:DWORD dst_unused:UNUSED_PAD src0_sel:BYTE_0
	v_pack_b32_f16 v38, v38, v113
	v_pk_lshrrev_b16 v113, 8, v1 op_sel:[1,0] op_sel_hi:[0,0]
	v_pk_lshrrev_b16 v1, 8, v1 op_sel:[1,1] op_sel_hi:[0,1]
	v_lshrrev_b32_e32 v118, 16, v113
	v_cvt_f16_i16_sdwa v113, sext(v113) dst_sel:DWORD dst_unused:UNUSED_PAD src0_sel:BYTE_0
	v_cvt_f16_i16_sdwa v118, sext(v118) dst_sel:DWORD dst_unused:UNUSED_PAD src0_sel:BYTE_0
	v_pack_b32_f16 v113, v113, v118
	v_lshrrev_b32_e32 v118, 16, v1
	v_cvt_f16_i16_sdwa v1, sext(v1) dst_sel:DWORD dst_unused:UNUSED_PAD src0_sel:BYTE_0
	v_cvt_f16_i16_sdwa v118, sext(v118) dst_sel:DWORD dst_unused:UNUSED_PAD src0_sel:BYTE_0
	v_pack_b32_f16 v1, v1, v118
	s_waitcnt vmcnt(1)
	v_mul_u32_u24_e32 v0, 0x10001, v0
	s_waitcnt vmcnt(0)
	v_mul_u32_u24_e32 v34, 0x10001, v34
	v_pk_mul_f16 v112, v112, v0
	v_pk_mul_f16 v0, v38, v0
	v_pk_mul_f16 v38, v113, v34
	v_pk_mul_f16 v1, v1, v34
	v_mul_u32_u24_sdwa v34, v39, v195 dst_sel:DWORD dst_unused:UNUSED_PAD src0_sel:WORD_1 src1_sel:DWORD
	v_pk_fma_f16 v118, v112, v34, v202
	v_pk_fma_f16 v119, v0, v34, v203
	v_pk_fma_f16 v120, v38, v34, v204
	v_pk_fma_f16 v121, v1, v34, v205
	v_mul_u32_u24_sdwa v34, v35, v195 dst_sel:DWORD dst_unused:UNUSED_PAD src0_sel:WORD_1 src1_sel:DWORD
	v_pk_fma_f16 v203, v0, v34, v43
	v_ashrrev_i32_e32 v0, 31, v144
	v_pk_fma_f16 v205, v1, v34, v45
	v_add_co_u32 v1, vcc_lo, s3, v144
	v_pk_fma_f16 v202, v112, v34, v42
	v_add_co_ci_u32_e64 v0, null, s11, v0, vcc_lo
	v_pk_fma_f16 v204, v38, v34, v44
	v_add_co_u32 v34, vcc_lo, v1, v197
	v_add_co_ci_u32_e64 v35, null, v0, v196, vcc_lo
	v_add_co_u32 v38, vcc_lo, v34, v190
	v_add_co_ci_u32_e64 v39, null, 0, v35, vcc_lo
	global_load_dword v44, v[38:39], off offset:2
	v_add_co_u32 v38, vcc_lo, v1, v199
	v_add_co_ci_u32_e64 v39, null, v0, v198, vcc_lo
	v_ashrrev_i32_e32 v0, 31, v145
	v_add_co_u32 v1, vcc_lo, s3, v145
	v_add_co_ci_u32_e64 v0, null, s11, v0, vcc_lo
	v_add_co_u32 v206, vcc_lo, v1, v197
	v_add_co_ci_u32_e64 v207, null, v0, v196, vcc_lo
	;; [unrolled: 2-line block ×4, first 2 shown]
	global_load_ushort v0, v[38:39], off
	v_add_co_u32 v38, vcc_lo, v208, v193
	v_add_co_ci_u32_e64 v39, null, 0, v209, vcc_lo
	global_load_dword v1, v[38:39], off offset:2
	v_add_co_u32 v38, vcc_lo, v206, v190
	v_add_co_ci_u32_e64 v39, null, 0, v207, vcc_lo
	s_clause 0x2
	global_load_dword v38, v[38:39], off offset:2
	global_load_dword v39, v[42:43], off offset:2
	global_load_ushort v34, v[34:35], off
	ds_write_b128 v129, v[118:121]
	ds_write_b128 v129, v[202:205] offset:16
	s_waitcnt vmcnt(5)
	v_pk_lshrrev_b16 v35, 8, v44 op_sel:[1,0] op_sel_hi:[0,0]
	v_lshrrev_b32_e32 v42, 16, v35
	v_cvt_f16_i16_sdwa v35, sext(v35) dst_sel:DWORD dst_unused:UNUSED_PAD src0_sel:BYTE_0
	v_cvt_f16_i16_sdwa v42, sext(v42) dst_sel:DWORD dst_unused:UNUSED_PAD src0_sel:BYTE_0
	v_pack_b32_f16 v35, v35, v42
	v_pk_lshrrev_b16 v42, 8, v44 op_sel:[1,1] op_sel_hi:[0,1]
	v_lshrrev_b32_e32 v43, 16, v42
	v_cvt_f16_i16_sdwa v42, sext(v42) dst_sel:DWORD dst_unused:UNUSED_PAD src0_sel:BYTE_0
	s_waitcnt vmcnt(4)
	v_mul_u32_u24_e32 v0, 0x10001, v0
	v_cvt_f16_i16_sdwa v43, sext(v43) dst_sel:DWORD dst_unused:UNUSED_PAD src0_sel:BYTE_0
	v_pack_b32_f16 v42, v42, v43
	s_waitcnt vmcnt(0)
	v_mul_u32_u24_e32 v34, 0x10001, v34
	v_pk_mul_f16 v35, v35, v34
	v_pk_mul_f16 v34, v42, v34
	v_pk_lshrrev_b16 v42, 8, v39 op_sel:[1,0] op_sel_hi:[0,0]
	v_pk_lshrrev_b16 v39, 8, v39 op_sel:[1,1] op_sel_hi:[0,1]
	v_lshrrev_b32_e32 v43, 16, v42
	v_cvt_f16_i16_sdwa v42, sext(v42) dst_sel:DWORD dst_unused:UNUSED_PAD src0_sel:BYTE_0
	v_cvt_f16_i16_sdwa v43, sext(v43) dst_sel:DWORD dst_unused:UNUSED_PAD src0_sel:BYTE_0
	v_pack_b32_f16 v42, v42, v43
	v_lshrrev_b32_e32 v43, 16, v39
	v_cvt_f16_i16_sdwa v39, sext(v39) dst_sel:DWORD dst_unused:UNUSED_PAD src0_sel:BYTE_0
	v_pk_mul_f16 v112, v42, v0
	v_cvt_f16_i16_sdwa v43, sext(v43) dst_sel:DWORD dst_unused:UNUSED_PAD src0_sel:BYTE_0
	v_pack_b32_f16 v39, v39, v43
	v_pk_mul_f16 v0, v39, v0
	v_mul_u32_u24_sdwa v39, v40, v195 dst_sel:DWORD dst_unused:UNUSED_PAD src0_sel:WORD_0 src1_sel:DWORD
	v_pk_fma_f16 v42, v35, v39, v118
	v_pk_fma_f16 v43, v34, v39, v119
	;; [unrolled: 1-line block ×4, first 2 shown]
	v_mul_u32_u24_sdwa v39, v36, v195 dst_sel:DWORD dst_unused:UNUSED_PAD src0_sel:WORD_0 src1_sel:DWORD
	v_pk_fma_f16 v119, v34, v39, v203
	v_pk_fma_f16 v121, v0, v39, v205
	s_clause 0x1
	global_load_ushort v0, v[206:207], off
	global_load_ushort v34, v[208:209], off
	v_pk_fma_f16 v118, v35, v39, v202
	v_pk_lshrrev_b16 v35, 8, v38 op_sel:[1,0] op_sel_hi:[0,0]
	v_pk_fma_f16 v120, v112, v39, v204
	v_pk_lshrrev_b16 v38, 8, v38 op_sel:[1,1] op_sel_hi:[0,1]
	ds_write_b128 v129, v[42:45]
	v_lshrrev_b32_e32 v39, 16, v35
	v_cvt_f16_i16_sdwa v35, sext(v35) dst_sel:DWORD dst_unused:UNUSED_PAD src0_sel:BYTE_0
	ds_write_b128 v129, v[118:121] offset:16
	v_cvt_f16_i16_sdwa v39, sext(v39) dst_sel:DWORD dst_unused:UNUSED_PAD src0_sel:BYTE_0
	v_pack_b32_f16 v35, v35, v39
	v_lshrrev_b32_e32 v39, 16, v38
	v_cvt_f16_i16_sdwa v38, sext(v38) dst_sel:DWORD dst_unused:UNUSED_PAD src0_sel:BYTE_0
	v_cvt_f16_i16_sdwa v39, sext(v39) dst_sel:DWORD dst_unused:UNUSED_PAD src0_sel:BYTE_0
	v_pack_b32_f16 v38, v38, v39
	s_waitcnt vmcnt(1)
	v_mul_u32_u24_e32 v0, 0x10001, v0
	s_waitcnt vmcnt(0)
	v_mul_u32_u24_e32 v34, 0x10001, v34
	v_pk_mul_f16 v35, v35, v0
	v_pk_mul_f16 v0, v38, v0
	v_pk_lshrrev_b16 v38, 8, v1 op_sel:[1,0] op_sel_hi:[0,0]
	v_pk_lshrrev_b16 v1, 8, v1 op_sel:[1,1] op_sel_hi:[0,1]
	v_lshrrev_b32_e32 v39, 16, v38
	v_cvt_f16_i16_sdwa v38, sext(v38) dst_sel:DWORD dst_unused:UNUSED_PAD src0_sel:BYTE_0
	v_cvt_f16_i16_sdwa v39, sext(v39) dst_sel:DWORD dst_unused:UNUSED_PAD src0_sel:BYTE_0
	v_pack_b32_f16 v38, v38, v39
	v_lshrrev_b32_e32 v39, 16, v1
	v_cvt_f16_i16_sdwa v1, sext(v1) dst_sel:DWORD dst_unused:UNUSED_PAD src0_sel:BYTE_0
	v_pk_mul_f16 v38, v38, v34
	v_cvt_f16_i16_sdwa v39, sext(v39) dst_sel:DWORD dst_unused:UNUSED_PAD src0_sel:BYTE_0
	v_pack_b32_f16 v1, v1, v39
	v_pk_mul_f16 v1, v1, v34
	v_mul_u32_u24_sdwa v34, v40, v195 dst_sel:DWORD dst_unused:UNUSED_PAD src0_sel:WORD_1 src1_sel:DWORD
	v_pk_fma_f16 v202, v35, v34, v42
	v_pk_fma_f16 v203, v0, v34, v43
	;; [unrolled: 1-line block ×4, first 2 shown]
	v_mul_u32_u24_sdwa v34, v36, v195 dst_sel:DWORD dst_unused:UNUSED_PAD src0_sel:WORD_1 src1_sel:DWORD
	v_pk_fma_f16 v43, v0, v34, v119
	v_ashrrev_i32_e32 v0, 31, v149
	v_pk_fma_f16 v45, v1, v34, v121
	v_add_co_u32 v1, vcc_lo, s3, v149
	v_pk_fma_f16 v42, v35, v34, v118
	v_add_co_ci_u32_e64 v0, null, s11, v0, vcc_lo
	v_pk_fma_f16 v44, v38, v34, v120
	v_add_co_u32 v34, vcc_lo, v1, v197
	v_add_co_ci_u32_e64 v35, null, v0, v196, vcc_lo
	v_add_co_u32 v38, vcc_lo, v34, v190
	v_add_co_ci_u32_e64 v39, null, 0, v35, vcc_lo
	global_load_dword v36, v[38:39], off offset:2
	v_add_co_u32 v38, vcc_lo, v1, v199
	v_add_co_ci_u32_e64 v39, null, v0, v198, vcc_lo
	v_ashrrev_i32_e32 v1, 31, v152
	v_add_co_u32 v118, vcc_lo, v38, v193
	v_add_co_ci_u32_e64 v119, null, 0, v39, vcc_lo
	v_add_co_u32 v40, vcc_lo, s3, v152
	v_add_co_ci_u32_e64 v1, null, s11, v1, vcc_lo
	global_load_dword v0, v[118:119], off offset:2
	v_add_co_u32 v118, vcc_lo, v40, v197
	v_add_co_ci_u32_e64 v119, null, v1, v196, vcc_lo
	v_add_co_u32 v207, vcc_lo, v40, v199
	v_add_co_ci_u32_e64 v208, null, v1, v198, vcc_lo
	;; [unrolled: 2-line block ×3, first 2 shown]
	global_load_ushort v1, v[118:119], off
	v_add_co_u32 v118, vcc_lo, v207, v193
	v_add_co_ci_u32_e64 v119, null, 0, v208, vcc_lo
	s_clause 0x3
	global_load_dword v40, v[118:119], off offset:2
	global_load_dword v112, v[120:121], off offset:2
	global_load_ushort v38, v[38:39], off
	global_load_ushort v34, v[34:35], off
	ds_write_b128 v129, v[202:205]
	ds_write_b128 v129, v[42:45] offset:16
	s_waitcnt vmcnt(6)
	v_pk_lshrrev_b16 v35, 8, v36 op_sel:[1,0] op_sel_hi:[0,0]
	v_pk_lshrrev_b16 v36, 8, v36 op_sel:[1,1] op_sel_hi:[0,1]
	v_lshrrev_b32_e32 v39, 16, v35
	v_cvt_f16_i16_sdwa v35, sext(v35) dst_sel:DWORD dst_unused:UNUSED_PAD src0_sel:BYTE_0
	v_cvt_f16_i16_sdwa v39, sext(v39) dst_sel:DWORD dst_unused:UNUSED_PAD src0_sel:BYTE_0
	v_pack_b32_f16 v35, v35, v39
	v_lshrrev_b32_e32 v39, 16, v36
	v_cvt_f16_i16_sdwa v36, sext(v36) dst_sel:DWORD dst_unused:UNUSED_PAD src0_sel:BYTE_0
	v_cvt_f16_i16_sdwa v39, sext(v39) dst_sel:DWORD dst_unused:UNUSED_PAD src0_sel:BYTE_0
	v_pack_b32_f16 v36, v36, v39
	s_waitcnt vmcnt(5)
	v_pk_lshrrev_b16 v39, 8, v0 op_sel:[1,0] op_sel_hi:[0,0]
	v_pk_lshrrev_b16 v0, 8, v0 op_sel:[1,1] op_sel_hi:[0,1]
	s_waitcnt vmcnt(4)
	v_mul_u32_u24_e32 v1, 0x10001, v1
	v_lshrrev_b32_e32 v113, 16, v39
	v_cvt_f16_i16_sdwa v39, sext(v39) dst_sel:DWORD dst_unused:UNUSED_PAD src0_sel:BYTE_0
	s_waitcnt vmcnt(0)
	v_mul_u32_u24_e32 v34, 0x10001, v34
	v_cvt_f16_i16_sdwa v113, sext(v113) dst_sel:DWORD dst_unused:UNUSED_PAD src0_sel:BYTE_0
	v_pk_mul_f16 v35, v35, v34
	v_pk_mul_f16 v34, v36, v34
	v_lshrrev_b32_e32 v36, 16, v0
	v_cvt_f16_i16_sdwa v0, sext(v0) dst_sel:DWORD dst_unused:UNUSED_PAD src0_sel:BYTE_0
	v_pack_b32_f16 v39, v39, v113
	v_add_co_u32 v113, vcc_lo, s3, v156
	v_cvt_f16_i16_sdwa v36, sext(v36) dst_sel:DWORD dst_unused:UNUSED_PAD src0_sel:BYTE_0
	v_pack_b32_f16 v0, v0, v36
	v_mul_u32_u24_e32 v36, 0x10001, v38
	v_pk_mul_f16 v38, v39, v36
	v_pk_mul_f16 v0, v0, v36
	v_mul_u32_u24_sdwa v36, v41, v195 dst_sel:DWORD dst_unused:UNUSED_PAD src0_sel:WORD_0 src1_sel:DWORD
	v_pk_fma_f16 v118, v35, v36, v202
	v_pk_fma_f16 v119, v34, v36, v203
	;; [unrolled: 1-line block ×4, first 2 shown]
	v_mul_u32_u24_sdwa v36, v37, v195 dst_sel:DWORD dst_unused:UNUSED_PAD src0_sel:WORD_0 src1_sel:DWORD
	ds_write_b128 v129, v[118:121]
	v_pk_fma_f16 v206, v0, v36, v45
	global_load_ushort v0, v[207:208], off
	v_pk_fma_f16 v204, v34, v36, v43
	v_pk_lshrrev_b16 v34, 8, v112 op_sel:[1,0] op_sel_hi:[0,0]
	v_pk_fma_f16 v203, v35, v36, v42
	v_pk_fma_f16 v205, v38, v36, v44
	v_pk_lshrrev_b16 v36, 8, v112 op_sel:[1,1] op_sel_hi:[0,1]
	v_mul_u32_u24_sdwa v38, v41, v195 dst_sel:DWORD dst_unused:UNUSED_PAD src0_sel:WORD_1 src1_sel:DWORD
	v_lshrrev_b32_e32 v35, 16, v34
	v_cvt_f16_i16_sdwa v34, sext(v34) dst_sel:DWORD dst_unused:UNUSED_PAD src0_sel:BYTE_0
	v_mul_u32_u24_sdwa v112, v37, v195 dst_sel:DWORD dst_unused:UNUSED_PAD src0_sel:WORD_1 src1_sel:DWORD
	v_lshrrev_b32_e32 v39, 16, v36
	ds_write_b128 v129, v[203:206] offset:16
	v_cvt_f16_i16_sdwa v35, sext(v35) dst_sel:DWORD dst_unused:UNUSED_PAD src0_sel:BYTE_0
	v_pack_b32_f16 v34, v34, v35
	v_cvt_f16_i16_sdwa v35, sext(v36) dst_sel:DWORD dst_unused:UNUSED_PAD src0_sel:BYTE_0
	v_cvt_f16_i16_sdwa v36, sext(v39) dst_sel:DWORD dst_unused:UNUSED_PAD src0_sel:BYTE_0
	v_pk_lshrrev_b16 v39, 8, v40 op_sel:[1,0] op_sel_hi:[0,0]
	v_pk_lshrrev_b16 v40, 8, v40 op_sel:[1,1] op_sel_hi:[0,1]
	v_pack_b32_f16 v35, v35, v36
	v_lshrrev_b32_e32 v36, 16, v39
	v_cvt_f16_i16_sdwa v39, sext(v39) dst_sel:DWORD dst_unused:UNUSED_PAD src0_sel:BYTE_0
	v_cvt_f16_i16_sdwa v36, sext(v36) dst_sel:DWORD dst_unused:UNUSED_PAD src0_sel:BYTE_0
	v_pack_b32_f16 v36, v39, v36
	v_lshrrev_b32_e32 v39, 16, v40
	v_cvt_f16_i16_sdwa v40, sext(v40) dst_sel:DWORD dst_unused:UNUSED_PAD src0_sel:BYTE_0
	v_cvt_f16_i16_sdwa v39, sext(v39) dst_sel:DWORD dst_unused:UNUSED_PAD src0_sel:BYTE_0
	v_pack_b32_f16 v39, v40, v39
	v_pk_mul_f16 v40, v34, v1
	v_pk_mul_f16 v1, v35, v1
	v_pk_fma_f16 v34, v40, v38, v118
	v_pk_fma_f16 v35, v1, v38, v119
	s_waitcnt vmcnt(0)
	v_mul_u32_u24_e32 v0, 0x10001, v0
	v_pk_mul_f16 v41, v36, v0
	v_pk_mul_f16 v0, v39, v0
	v_ashrrev_i32_e32 v39, 31, v156
	v_pk_fma_f16 v36, v41, v38, v120
	v_pk_fma_f16 v37, v0, v38, v121
	v_add_co_ci_u32_e64 v118, null, s11, v39, vcc_lo
	v_add_co_u32 v42, vcc_lo, v113, v197
	v_pk_fma_f16 v38, v40, v112, v203
	v_add_co_ci_u32_e64 v43, null, v118, v196, vcc_lo
	v_add_co_u32 v44, vcc_lo, v42, v190
	v_pk_fma_f16 v40, v41, v112, v205
	v_add_co_ci_u32_e64 v45, null, 0, v43, vcc_lo
	v_pk_fma_f16 v41, v0, v112, v206
	v_ashrrev_i32_e32 v0, 31, v159
	v_pk_fma_f16 v39, v1, v112, v204
	global_load_dword v202, v[44:45], off offset:2
	v_add_co_u32 v44, vcc_lo, v113, v199
	v_add_co_ci_u32_e64 v45, null, v118, v198, vcc_lo
	v_add_co_u32 v118, vcc_lo, v44, v193
	v_add_co_ci_u32_e64 v119, null, 0, v45, vcc_lo
	;; [unrolled: 2-line block ×3, first 2 shown]
	global_load_dword v203, v[118:119], off offset:2
	v_add_co_u32 v120, vcc_lo, v1, v197
	v_add_co_ci_u32_e64 v121, null, v0, v196, vcc_lo
	v_add_co_u32 v118, vcc_lo, v1, v199
	v_add_co_ci_u32_e64 v119, null, v0, v198, vcc_lo
	;; [unrolled: 2-line block ×3, first 2 shown]
	global_load_ushort v0, v[120:121], off
	v_add_co_u32 v120, vcc_lo, v118, v193
	v_add_co_ci_u32_e64 v121, null, 0, v119, vcc_lo
	s_clause 0x3
	global_load_dword v1, v[120:121], off offset:2
	global_load_dword v112, v[204:205], off offset:2
	global_load_ushort v44, v[44:45], off
	global_load_ushort v42, v[42:43], off
	s_waitcnt vmcnt(6)
	v_pk_lshrrev_b16 v43, 8, v202 op_sel:[1,0] op_sel_hi:[0,0]
	v_pk_lshrrev_b16 v113, 8, v202 op_sel:[1,1] op_sel_hi:[0,1]
	v_lshrrev_b32_e32 v45, 16, v43
	v_cvt_f16_i16_sdwa v43, sext(v43) dst_sel:DWORD dst_unused:UNUSED_PAD src0_sel:BYTE_0
	v_lshrrev_b32_e32 v120, 16, v113
	v_cvt_f16_i16_sdwa v45, sext(v45) dst_sel:DWORD dst_unused:UNUSED_PAD src0_sel:BYTE_0
	s_waitcnt vmcnt(5)
	v_pk_lshrrev_b16 v121, 8, v203 op_sel:[1,1] op_sel_hi:[0,1]
	v_pack_b32_f16 v43, v43, v45
	v_cvt_f16_i16_sdwa v45, sext(v113) dst_sel:DWORD dst_unused:UNUSED_PAD src0_sel:BYTE_0
	v_cvt_f16_i16_sdwa v113, sext(v120) dst_sel:DWORD dst_unused:UNUSED_PAD src0_sel:BYTE_0
	v_pk_lshrrev_b16 v120, 8, v203 op_sel:[1,0] op_sel_hi:[0,0]
	v_pack_b32_f16 v45, v45, v113
	v_lshrrev_b32_e32 v113, 16, v120
	v_cvt_f16_i16_sdwa v120, sext(v120) dst_sel:DWORD dst_unused:UNUSED_PAD src0_sel:BYTE_0
	s_waitcnt vmcnt(4)
	v_mul_u32_u24_e32 v0, 0x10001, v0
	v_cvt_f16_i16_sdwa v113, sext(v113) dst_sel:DWORD dst_unused:UNUSED_PAD src0_sel:BYTE_0
	v_pack_b32_f16 v113, v120, v113
	v_lshrrev_b32_e32 v120, 16, v121
	v_cvt_f16_i16_sdwa v121, sext(v121) dst_sel:DWORD dst_unused:UNUSED_PAD src0_sel:BYTE_0
	s_waitcnt vmcnt(0)
	v_mul_u32_u24_e32 v42, 0x10001, v42
	v_mul_u32_u24_e32 v44, 0x10001, v44
	v_cvt_f16_i16_sdwa v120, sext(v120) dst_sel:DWORD dst_unused:UNUSED_PAD src0_sel:BYTE_0
	v_pk_mul_f16 v124, v45, v42
	v_pk_mul_f16 v113, v113, v44
	v_pack_b32_f16 v120, v121, v120
	v_pk_mul_f16 v121, v43, v42
	v_pk_mul_f16 v120, v120, v44
	ds_read_b128 v[202:205], v188 offset:32
	ds_read_b128 v[42:45], v188 offset:48
	ds_write_b128 v129, v[34:37]
	s_waitcnt lgkmcnt(2)
	v_mul_u32_u24_sdwa v125, v202, v195 dst_sel:DWORD dst_unused:UNUSED_PAD src0_sel:WORD_0 src1_sel:DWORD
	v_pk_fma_f16 v206, v121, v125, v34
	v_pk_fma_f16 v207, v124, v125, v35
	;; [unrolled: 1-line block ×4, first 2 shown]
	ds_read_b128 v[210:213], v188 offset:288
	ds_read_b128 v[34:37], v188 offset:304
	ds_write_b128 v129, v[38:41] offset:16
	ds_write_b128 v129, v[206:209]
	s_waitcnt lgkmcnt(3)
	v_mul_u32_u24_sdwa v125, v210, v195 dst_sel:DWORD dst_unused:UNUSED_PAD src0_sel:WORD_0 src1_sel:DWORD
	v_pk_fma_f16 v214, v121, v125, v38
	global_load_ushort v38, v[118:119], off
	v_pk_fma_f16 v215, v124, v125, v39
	v_pk_lshrrev_b16 v39, 8, v112 op_sel:[1,0] op_sel_hi:[0,0]
	v_pk_fma_f16 v216, v113, v125, v40
	v_pk_fma_f16 v217, v120, v125, v41
	v_mul_u32_u24_sdwa v121, v210, v195 dst_sel:DWORD dst_unused:UNUSED_PAD src0_sel:WORD_1 src1_sel:DWORD
	v_lshrrev_b32_e32 v40, 16, v39
	v_cvt_f16_i16_sdwa v39, sext(v39) dst_sel:DWORD dst_unused:UNUSED_PAD src0_sel:BYTE_0
	ds_write_b128 v129, v[214:217] offset:16
	v_cvt_f16_i16_sdwa v40, sext(v40) dst_sel:DWORD dst_unused:UNUSED_PAD src0_sel:BYTE_0
	v_pack_b32_f16 v39, v39, v40
	v_pk_lshrrev_b16 v40, 8, v112 op_sel:[1,1] op_sel_hi:[0,1]
	v_pk_mul_f16 v112, v39, v0
	v_lshrrev_b32_e32 v41, 16, v40
	v_cvt_f16_i16_sdwa v40, sext(v40) dst_sel:DWORD dst_unused:UNUSED_PAD src0_sel:BYTE_0
	v_pk_lshrrev_b16 v39, 8, v1 op_sel:[1,0] op_sel_hi:[0,0]
	v_pk_lshrrev_b16 v1, 8, v1 op_sel:[1,1] op_sel_hi:[0,1]
	v_pk_fma_f16 v118, v112, v121, v214
	v_cvt_f16_i16_sdwa v41, sext(v41) dst_sel:DWORD dst_unused:UNUSED_PAD src0_sel:BYTE_0
	v_pack_b32_f16 v40, v40, v41
	v_mul_u32_u24_sdwa v41, v202, v195 dst_sel:DWORD dst_unused:UNUSED_PAD src0_sel:WORD_1 src1_sel:DWORD
	v_pk_mul_f16 v0, v40, v0
	v_lshrrev_b32_e32 v40, 16, v39
	v_cvt_f16_i16_sdwa v39, sext(v39) dst_sel:DWORD dst_unused:UNUSED_PAD src0_sel:BYTE_0
	v_pk_fma_f16 v119, v0, v121, v215
	v_cvt_f16_i16_sdwa v40, sext(v40) dst_sel:DWORD dst_unused:UNUSED_PAD src0_sel:BYTE_0
	v_pack_b32_f16 v39, v39, v40
	v_lshrrev_b32_e32 v40, 16, v1
	v_cvt_f16_i16_sdwa v1, sext(v1) dst_sel:DWORD dst_unused:UNUSED_PAD src0_sel:BYTE_0
	v_cvt_f16_i16_sdwa v40, sext(v40) dst_sel:DWORD dst_unused:UNUSED_PAD src0_sel:BYTE_0
	v_pack_b32_f16 v1, v1, v40
	s_waitcnt vmcnt(0)
	v_mul_u32_u24_e32 v38, 0x10001, v38
	v_pk_mul_f16 v113, v39, v38
	v_pk_mul_f16 v1, v1, v38
	v_pk_fma_f16 v39, v0, v41, v207
	v_ashrrev_i32_e32 v0, 31, v164
	v_pk_fma_f16 v38, v112, v41, v206
	v_pk_fma_f16 v40, v113, v41, v208
	;; [unrolled: 1-line block ×5, first 2 shown]
	v_add_co_u32 v1, vcc_lo, s3, v164
	v_add_co_ci_u32_e64 v0, null, s11, v0, vcc_lo
	v_add_co_u32 v206, vcc_lo, v1, v197
	v_add_co_ci_u32_e64 v207, null, v0, v196, vcc_lo
	;; [unrolled: 2-line block ×3, first 2 shown]
	global_load_dword v112, v[208:209], off offset:2
	v_add_co_u32 v208, vcc_lo, v1, v199
	v_add_co_ci_u32_e64 v209, null, v0, v198, vcc_lo
	v_ashrrev_i32_e32 v1, 31, v166
	v_add_co_u32 v214, vcc_lo, v208, v193
	v_add_co_ci_u32_e64 v215, null, 0, v209, vcc_lo
	v_add_co_u32 v113, vcc_lo, s3, v166
	v_add_co_ci_u32_e64 v1, null, s11, v1, vcc_lo
	global_load_dword v0, v[214:215], off offset:2
	v_add_co_u32 v214, vcc_lo, v113, v197
	v_add_co_ci_u32_e64 v215, null, v1, v196, vcc_lo
	v_add_co_u32 v216, vcc_lo, v113, v199
	v_add_co_ci_u32_e64 v217, null, v1, v198, vcc_lo
	;; [unrolled: 2-line block ×3, first 2 shown]
	global_load_ushort v1, v[214:215], off
	v_add_co_u32 v214, vcc_lo, v216, v193
	v_add_co_ci_u32_e64 v215, null, 0, v217, vcc_lo
	s_clause 0x3
	global_load_dword v113, v[214:215], off offset:2
	global_load_dword v124, v[218:219], off offset:2
	global_load_ushort v125, v[208:209], off
	global_load_ushort v126, v[206:207], off
	ds_write_b128 v129, v[38:41]
	ds_write_b128 v129, v[118:121] offset:16
	s_waitcnt vmcnt(6)
	v_pk_lshrrev_b16 v130, 8, v112 op_sel:[1,0] op_sel_hi:[0,0]
	v_pk_lshrrev_b16 v112, 8, v112 op_sel:[1,1] op_sel_hi:[0,1]
	v_lshrrev_b32_e32 v147, 16, v130
	v_cvt_f16_i16_sdwa v130, sext(v130) dst_sel:DWORD dst_unused:UNUSED_PAD src0_sel:BYTE_0
	v_cvt_f16_i16_sdwa v147, sext(v147) dst_sel:DWORD dst_unused:UNUSED_PAD src0_sel:BYTE_0
	v_pack_b32_f16 v130, v130, v147
	v_lshrrev_b32_e32 v147, 16, v112
	v_cvt_f16_i16_sdwa v112, sext(v112) dst_sel:DWORD dst_unused:UNUSED_PAD src0_sel:BYTE_0
	v_cvt_f16_i16_sdwa v147, sext(v147) dst_sel:DWORD dst_unused:UNUSED_PAD src0_sel:BYTE_0
	v_pack_b32_f16 v112, v112, v147
	s_waitcnt vmcnt(5)
	v_pk_lshrrev_b16 v147, 8, v0 op_sel:[1,0] op_sel_hi:[0,0]
	v_pk_lshrrev_b16 v0, 8, v0 op_sel:[1,1] op_sel_hi:[0,1]
	s_waitcnt vmcnt(4)
	v_mul_u32_u24_e32 v1, 0x10001, v1
	v_lshrrev_b32_e32 v151, 16, v147
	v_cvt_f16_i16_sdwa v147, sext(v147) dst_sel:DWORD dst_unused:UNUSED_PAD src0_sel:BYTE_0
	s_waitcnt vmcnt(1)
	v_mul_u32_u24_e32 v125, 0x10001, v125
	s_waitcnt vmcnt(0)
	v_mul_u32_u24_e32 v126, 0x10001, v126
	v_cvt_f16_i16_sdwa v151, sext(v151) dst_sel:DWORD dst_unused:UNUSED_PAD src0_sel:BYTE_0
	v_pk_mul_f16 v130, v130, v126
	v_pk_mul_f16 v112, v112, v126
	v_lshrrev_b32_e32 v126, 16, v0
	v_cvt_f16_i16_sdwa v0, sext(v0) dst_sel:DWORD dst_unused:UNUSED_PAD src0_sel:BYTE_0
	v_pack_b32_f16 v147, v147, v151
	v_cvt_f16_i16_sdwa v126, sext(v126) dst_sel:DWORD dst_unused:UNUSED_PAD src0_sel:BYTE_0
	v_pack_b32_f16 v0, v0, v126
	v_pk_mul_f16 v126, v147, v125
	v_pk_mul_f16 v0, v0, v125
	v_mul_u32_u24_sdwa v125, v203, v195 dst_sel:DWORD dst_unused:UNUSED_PAD src0_sel:WORD_0 src1_sel:DWORD
	v_pk_fma_f16 v209, v0, v125, v41
	v_mul_u32_u24_sdwa v41, v211, v195 dst_sel:DWORD dst_unused:UNUSED_PAD src0_sel:WORD_0 src1_sel:DWORD
	v_pk_fma_f16 v206, v130, v125, v38
	v_pk_fma_f16 v207, v112, v125, v39
	;; [unrolled: 1-line block ×7, first 2 shown]
	global_load_ushort v0, v[216:217], off
	v_pk_lshrrev_b16 v112, 8, v124 op_sel:[1,0] op_sel_hi:[0,0]
	ds_write_b128 v129, v[206:209]
	ds_write_b128 v129, v[38:41] offset:16
	v_lshrrev_b32_e32 v118, 16, v112
	v_cvt_f16_i16_sdwa v112, sext(v112) dst_sel:DWORD dst_unused:UNUSED_PAD src0_sel:BYTE_0
	v_cvt_f16_i16_sdwa v118, sext(v118) dst_sel:DWORD dst_unused:UNUSED_PAD src0_sel:BYTE_0
	v_pack_b32_f16 v112, v112, v118
	v_pk_lshrrev_b16 v118, 8, v124 op_sel:[1,1] op_sel_hi:[0,1]
	v_pk_mul_f16 v112, v112, v1
	v_lshrrev_b32_e32 v119, 16, v118
	v_cvt_f16_i16_sdwa v118, sext(v118) dst_sel:DWORD dst_unused:UNUSED_PAD src0_sel:BYTE_0
	v_cvt_f16_i16_sdwa v119, sext(v119) dst_sel:DWORD dst_unused:UNUSED_PAD src0_sel:BYTE_0
	v_pack_b32_f16 v118, v118, v119
	v_pk_mul_f16 v1, v118, v1
	v_pk_lshrrev_b16 v118, 8, v113 op_sel:[1,0] op_sel_hi:[0,0]
	v_pk_lshrrev_b16 v113, 8, v113 op_sel:[1,1] op_sel_hi:[0,1]
	v_lshrrev_b32_e32 v119, 16, v118
	v_cvt_f16_i16_sdwa v118, sext(v118) dst_sel:DWORD dst_unused:UNUSED_PAD src0_sel:BYTE_0
	v_cvt_f16_i16_sdwa v119, sext(v119) dst_sel:DWORD dst_unused:UNUSED_PAD src0_sel:BYTE_0
	v_pack_b32_f16 v118, v118, v119
	v_lshrrev_b32_e32 v119, 16, v113
	v_cvt_f16_i16_sdwa v113, sext(v113) dst_sel:DWORD dst_unused:UNUSED_PAD src0_sel:BYTE_0
	v_cvt_f16_i16_sdwa v119, sext(v119) dst_sel:DWORD dst_unused:UNUSED_PAD src0_sel:BYTE_0
	v_pack_b32_f16 v113, v113, v119
	s_waitcnt vmcnt(0)
	v_mul_u32_u24_e32 v0, 0x10001, v0
	v_pk_mul_f16 v124, v118, v0
	v_pk_mul_f16 v0, v113, v0
	v_mul_u32_u24_sdwa v113, v203, v195 dst_sel:DWORD dst_unused:UNUSED_PAD src0_sel:WORD_1 src1_sel:DWORD
	v_pk_fma_f16 v118, v112, v113, v206
	v_pk_fma_f16 v119, v1, v113, v207
	;; [unrolled: 1-line block ×4, first 2 shown]
	v_mul_u32_u24_sdwa v113, v211, v195 dst_sel:DWORD dst_unused:UNUSED_PAD src0_sel:WORD_1 src1_sel:DWORD
	v_pk_fma_f16 v209, v0, v113, v41
	v_ashrrev_i32_e32 v0, 31, v169
	v_pk_fma_f16 v207, v1, v113, v39
	v_add_co_u32 v1, vcc_lo, s3, v169
	v_pk_fma_f16 v206, v112, v113, v38
	v_add_co_ci_u32_e64 v0, null, s11, v0, vcc_lo
	v_add_co_u32 v38, vcc_lo, v1, v197
	v_pk_fma_f16 v208, v124, v113, v40
	v_add_co_ci_u32_e64 v39, null, v0, v196, vcc_lo
	v_add_co_u32 v40, vcc_lo, v38, v190
	v_add_co_ci_u32_e64 v41, null, 0, v39, vcc_lo
	global_load_dword v112, v[40:41], off offset:2
	v_add_co_u32 v40, vcc_lo, v1, v199
	v_add_co_ci_u32_e64 v41, null, v0, v198, vcc_lo
	v_ashrrev_i32_e32 v1, 31, v172
	v_add_co_u32 v202, vcc_lo, v40, v193
	v_add_co_ci_u32_e64 v203, null, 0, v41, vcc_lo
	v_add_co_u32 v113, vcc_lo, s3, v172
	v_add_co_ci_u32_e64 v1, null, s11, v1, vcc_lo
	global_load_dword v0, v[202:203], off offset:2
	v_add_co_u32 v202, vcc_lo, v113, v197
	v_add_co_ci_u32_e64 v203, null, v1, v196, vcc_lo
	v_add_co_u32 v210, vcc_lo, v113, v199
	v_add_co_ci_u32_e64 v211, null, v1, v198, vcc_lo
	;; [unrolled: 2-line block ×3, first 2 shown]
	global_load_ushort v1, v[202:203], off
	v_add_co_u32 v202, vcc_lo, v210, v193
	v_add_co_ci_u32_e64 v203, null, 0, v211, vcc_lo
	s_clause 0x3
	global_load_dword v113, v[202:203], off offset:2
	global_load_dword v124, v[214:215], off offset:2
	global_load_ushort v40, v[40:41], off
	global_load_ushort v38, v[38:39], off
	ds_write_b128 v129, v[118:121]
	ds_write_b128 v129, v[206:209] offset:16
	s_waitcnt vmcnt(6)
	v_pk_lshrrev_b16 v39, 8, v112 op_sel:[1,0] op_sel_hi:[0,0]
	v_lshrrev_b32_e32 v41, 16, v39
	v_cvt_f16_i16_sdwa v39, sext(v39) dst_sel:DWORD dst_unused:UNUSED_PAD src0_sel:BYTE_0
	v_cvt_f16_i16_sdwa v41, sext(v41) dst_sel:DWORD dst_unused:UNUSED_PAD src0_sel:BYTE_0
	v_pack_b32_f16 v39, v39, v41
	v_pk_lshrrev_b16 v41, 8, v112 op_sel:[1,1] op_sel_hi:[0,1]
	v_lshrrev_b32_e32 v112, 16, v41
	v_cvt_f16_i16_sdwa v41, sext(v41) dst_sel:DWORD dst_unused:UNUSED_PAD src0_sel:BYTE_0
	v_cvt_f16_i16_sdwa v112, sext(v112) dst_sel:DWORD dst_unused:UNUSED_PAD src0_sel:BYTE_0
	s_waitcnt vmcnt(4)
	v_mul_u32_u24_e32 v1, 0x10001, v1
	v_pack_b32_f16 v41, v41, v112
	v_pk_lshrrev_b16 v112, 8, v0 op_sel:[1,0] op_sel_hi:[0,0]
	v_pk_lshrrev_b16 v0, 8, v0 op_sel:[1,1] op_sel_hi:[0,1]
	s_waitcnt vmcnt(0)
	v_mul_u32_u24_e32 v38, 0x10001, v38
	v_lshrrev_b32_e32 v125, 16, v112
	v_cvt_f16_i16_sdwa v112, sext(v112) dst_sel:DWORD dst_unused:UNUSED_PAD src0_sel:BYTE_0
	v_pk_mul_f16 v126, v41, v38
	v_mul_u32_u24_sdwa v41, v204, v195 dst_sel:DWORD dst_unused:UNUSED_PAD src0_sel:WORD_0 src1_sel:DWORD
	v_cvt_f16_i16_sdwa v125, sext(v125) dst_sel:DWORD dst_unused:UNUSED_PAD src0_sel:BYTE_0
	v_pack_b32_f16 v112, v112, v125
	v_pk_mul_f16 v125, v39, v38
	v_lshrrev_b32_e32 v38, 16, v0
	v_cvt_f16_i16_sdwa v0, sext(v0) dst_sel:DWORD dst_unused:UNUSED_PAD src0_sel:BYTE_0
	v_pk_fma_f16 v39, v126, v41, v119
	v_cvt_f16_i16_sdwa v38, sext(v38) dst_sel:DWORD dst_unused:UNUSED_PAD src0_sel:BYTE_0
	v_pack_b32_f16 v0, v0, v38
	v_mul_u32_u24_e32 v38, 0x10001, v40
	v_pk_mul_f16 v112, v112, v38
	v_pk_mul_f16 v0, v0, v38
	v_pk_fma_f16 v38, v125, v41, v118
	v_pk_fma_f16 v40, v112, v41, v120
	;; [unrolled: 1-line block ×3, first 2 shown]
	v_mul_u32_u24_sdwa v121, v212, v195 dst_sel:DWORD dst_unused:UNUSED_PAD src0_sel:WORD_0 src1_sel:DWORD
	ds_write_b128 v129, v[38:41]
	v_pk_fma_f16 v118, v125, v121, v206
	v_pk_fma_f16 v119, v126, v121, v207
	;; [unrolled: 1-line block ×4, first 2 shown]
	global_load_ushort v0, v[210:211], off
	v_pk_lshrrev_b16 v112, 8, v124 op_sel:[1,0] op_sel_hi:[0,0]
	v_pk_lshrrev_b16 v124, 8, v124 op_sel:[1,1] op_sel_hi:[0,1]
	v_mul_u32_u24_sdwa v126, v213, v195 dst_sel:DWORD dst_unused:UNUSED_PAD src0_sel:WORD_0 src1_sel:DWORD
	ds_write_b128 v129, v[118:121] offset:16
	v_lshrrev_b32_e32 v125, 16, v112
	v_cvt_f16_i16_sdwa v112, sext(v112) dst_sel:DWORD dst_unused:UNUSED_PAD src0_sel:BYTE_0
	v_cvt_f16_i16_sdwa v125, sext(v125) dst_sel:DWORD dst_unused:UNUSED_PAD src0_sel:BYTE_0
	v_pack_b32_f16 v112, v112, v125
	v_lshrrev_b32_e32 v125, 16, v124
	v_cvt_f16_i16_sdwa v124, sext(v124) dst_sel:DWORD dst_unused:UNUSED_PAD src0_sel:BYTE_0
	v_pk_mul_f16 v112, v112, v1
	v_cvt_f16_i16_sdwa v125, sext(v125) dst_sel:DWORD dst_unused:UNUSED_PAD src0_sel:BYTE_0
	v_pack_b32_f16 v124, v124, v125
	v_pk_mul_f16 v1, v124, v1
	v_pk_lshrrev_b16 v124, 8, v113 op_sel:[1,0] op_sel_hi:[0,0]
	v_pk_lshrrev_b16 v113, 8, v113 op_sel:[1,1] op_sel_hi:[0,1]
	v_lshrrev_b32_e32 v125, 16, v124
	v_cvt_f16_i16_sdwa v124, sext(v124) dst_sel:DWORD dst_unused:UNUSED_PAD src0_sel:BYTE_0
	v_cvt_f16_i16_sdwa v125, sext(v125) dst_sel:DWORD dst_unused:UNUSED_PAD src0_sel:BYTE_0
	v_pack_b32_f16 v124, v124, v125
	v_lshrrev_b32_e32 v125, 16, v113
	v_cvt_f16_i16_sdwa v113, sext(v113) dst_sel:DWORD dst_unused:UNUSED_PAD src0_sel:BYTE_0
	v_cvt_f16_i16_sdwa v125, sext(v125) dst_sel:DWORD dst_unused:UNUSED_PAD src0_sel:BYTE_0
	v_pack_b32_f16 v113, v113, v125
	s_waitcnt vmcnt(0)
	v_mul_u32_u24_e32 v0, 0x10001, v0
	v_pk_mul_f16 v124, v124, v0
	v_pk_mul_f16 v0, v113, v0
	v_mul_u32_u24_sdwa v113, v204, v195 dst_sel:DWORD dst_unused:UNUSED_PAD src0_sel:WORD_1 src1_sel:DWORD
	v_pk_fma_f16 v209, v0, v113, v41
	v_mul_u32_u24_sdwa v41, v212, v195 dst_sel:DWORD dst_unused:UNUSED_PAD src0_sel:WORD_1 src1_sel:DWORD
	v_pk_fma_f16 v206, v112, v113, v38
	v_pk_fma_f16 v207, v1, v113, v39
	;; [unrolled: 1-line block ×7, first 2 shown]
	v_ashrrev_i32_e32 v0, 31, v175
	v_add_co_u32 v1, vcc_lo, s3, v175
	v_add_co_ci_u32_e64 v0, null, s11, v0, vcc_lo
	v_add_co_u32 v118, vcc_lo, v1, v197
	v_add_co_ci_u32_e64 v119, null, v0, v196, vcc_lo
	;; [unrolled: 2-line block ×3, first 2 shown]
	global_load_dword v112, v[120:121], off offset:2
	v_add_co_u32 v120, vcc_lo, v1, v199
	v_add_co_ci_u32_e64 v121, null, v0, v198, vcc_lo
	v_ashrrev_i32_e32 v0, 31, v176
	v_add_co_u32 v1, vcc_lo, s3, v176
	v_add_co_ci_u32_e64 v0, null, s11, v0, vcc_lo
	v_add_co_u32 v202, vcc_lo, v1, v197
	v_add_co_ci_u32_e64 v203, null, v0, v196, vcc_lo
	;; [unrolled: 2-line block ×4, first 2 shown]
	global_load_ushort v0, v[120:121], off
	v_add_co_u32 v120, vcc_lo, v210, v193
	v_add_co_ci_u32_e64 v121, null, 0, v211, vcc_lo
	global_load_dword v1, v[120:121], off offset:2
	v_add_co_u32 v120, vcc_lo, v202, v190
	v_add_co_ci_u32_e64 v121, null, 0, v203, vcc_lo
	s_clause 0x2
	global_load_dword v113, v[120:121], off offset:2
	global_load_dword v120, v[214:215], off offset:2
	global_load_ushort v118, v[118:119], off
	ds_write_b128 v129, v[206:209]
	ds_write_b128 v129, v[38:41] offset:16
	s_waitcnt vmcnt(5)
	v_pk_lshrrev_b16 v119, 8, v112 op_sel:[1,0] op_sel_hi:[0,0]
	v_pk_lshrrev_b16 v112, 8, v112 op_sel:[1,1] op_sel_hi:[0,1]
	v_lshrrev_b32_e32 v121, 16, v119
	v_cvt_f16_i16_sdwa v119, sext(v119) dst_sel:DWORD dst_unused:UNUSED_PAD src0_sel:BYTE_0
	v_cvt_f16_i16_sdwa v121, sext(v121) dst_sel:DWORD dst_unused:UNUSED_PAD src0_sel:BYTE_0
	v_pack_b32_f16 v119, v119, v121
	v_lshrrev_b32_e32 v121, 16, v112
	v_cvt_f16_i16_sdwa v112, sext(v112) dst_sel:DWORD dst_unused:UNUSED_PAD src0_sel:BYTE_0
	v_cvt_f16_i16_sdwa v121, sext(v121) dst_sel:DWORD dst_unused:UNUSED_PAD src0_sel:BYTE_0
	s_waitcnt vmcnt(4)
	v_mul_u32_u24_e32 v0, 0x10001, v0
	v_pack_b32_f16 v112, v112, v121
	v_mul_u32_u24_sdwa v121, v205, v195 dst_sel:DWORD dst_unused:UNUSED_PAD src0_sel:WORD_0 src1_sel:DWORD
	s_waitcnt vmcnt(0)
	v_mul_u32_u24_e32 v118, 0x10001, v118
	v_pk_mul_f16 v124, v119, v118
	v_pk_mul_f16 v112, v112, v118
	v_pk_lshrrev_b16 v118, 8, v120 op_sel:[1,0] op_sel_hi:[0,0]
	v_lshrrev_b32_e32 v119, 16, v118
	v_cvt_f16_i16_sdwa v118, sext(v118) dst_sel:DWORD dst_unused:UNUSED_PAD src0_sel:BYTE_0
	v_cvt_f16_i16_sdwa v119, sext(v119) dst_sel:DWORD dst_unused:UNUSED_PAD src0_sel:BYTE_0
	v_pack_b32_f16 v118, v118, v119
	v_pk_lshrrev_b16 v119, 8, v120 op_sel:[1,1] op_sel_hi:[0,1]
	v_pk_mul_f16 v125, v118, v0
	v_lshrrev_b32_e32 v120, 16, v119
	v_cvt_f16_i16_sdwa v119, sext(v119) dst_sel:DWORD dst_unused:UNUSED_PAD src0_sel:BYTE_0
	v_pk_fma_f16 v118, v124, v121, v206
	v_pk_fma_f16 v206, v124, v126, v38
	v_cvt_f16_i16_sdwa v120, sext(v120) dst_sel:DWORD dst_unused:UNUSED_PAD src0_sel:BYTE_0
	v_pack_b32_f16 v119, v119, v120
	v_pk_fma_f16 v120, v125, v121, v208
	v_pk_fma_f16 v208, v125, v126, v40
	v_pk_lshrrev_b16 v40, 8, v113 op_sel:[1,0] op_sel_hi:[0,0]
	v_pk_mul_f16 v0, v119, v0
	v_pk_fma_f16 v119, v112, v121, v207
	v_pk_fma_f16 v207, v112, v126, v39
	s_clause 0x1
	global_load_ushort v38, v[202:203], off
	global_load_ushort v39, v[210:211], off
	v_pk_fma_f16 v121, v0, v121, v209
	v_pk_fma_f16 v209, v0, v126, v41
	v_lshrrev_b32_e32 v41, 16, v40
	v_cvt_f16_i16_sdwa v40, sext(v40) dst_sel:DWORD dst_unused:UNUSED_PAD src0_sel:BYTE_0
	v_mul_u32_u24_sdwa v0, v205, v195 dst_sel:DWORD dst_unused:UNUSED_PAD src0_sel:WORD_1 src1_sel:DWORD
	ds_write_b128 v129, v[118:121]
	ds_write_b128 v129, v[206:209] offset:16
	v_cvt_f16_i16_sdwa v41, sext(v41) dst_sel:DWORD dst_unused:UNUSED_PAD src0_sel:BYTE_0
	v_pack_b32_f16 v40, v40, v41
	v_pk_lshrrev_b16 v41, 8, v113 op_sel:[1,1] op_sel_hi:[0,1]
	v_lshrrev_b32_e32 v112, 16, v41
	v_cvt_f16_i16_sdwa v41, sext(v41) dst_sel:DWORD dst_unused:UNUSED_PAD src0_sel:BYTE_0
	v_cvt_f16_i16_sdwa v112, sext(v112) dst_sel:DWORD dst_unused:UNUSED_PAD src0_sel:BYTE_0
	v_pack_b32_f16 v41, v41, v112
	s_waitcnt vmcnt(1)
	v_mul_u32_u24_e32 v38, 0x10001, v38
	s_waitcnt vmcnt(0)
	v_mul_u32_u24_e32 v39, 0x10001, v39
	v_pk_mul_f16 v112, v40, v38
	v_pk_mul_f16 v113, v41, v38
	v_pk_lshrrev_b16 v38, 8, v1 op_sel:[1,0] op_sel_hi:[0,0]
	v_pk_lshrrev_b16 v1, 8, v1 op_sel:[1,1] op_sel_hi:[0,1]
	v_lshrrev_b32_e32 v40, 16, v38
	v_cvt_f16_i16_sdwa v38, sext(v38) dst_sel:DWORD dst_unused:UNUSED_PAD src0_sel:BYTE_0
	v_cvt_f16_i16_sdwa v40, sext(v40) dst_sel:DWORD dst_unused:UNUSED_PAD src0_sel:BYTE_0
	v_pack_b32_f16 v38, v38, v40
	v_lshrrev_b32_e32 v40, 16, v1
	v_cvt_f16_i16_sdwa v1, sext(v1) dst_sel:DWORD dst_unused:UNUSED_PAD src0_sel:BYTE_0
	v_pk_mul_f16 v124, v38, v39
	v_cvt_f16_i16_sdwa v40, sext(v40) dst_sel:DWORD dst_unused:UNUSED_PAD src0_sel:BYTE_0
	v_pk_fma_f16 v38, v112, v0, v118
	v_pack_b32_f16 v1, v1, v40
	v_pk_fma_f16 v40, v124, v0, v120
	v_pk_mul_f16 v1, v1, v39
	v_pk_fma_f16 v39, v113, v0, v119
	v_pk_fma_f16 v41, v1, v0, v121
	v_mul_u32_u24_sdwa v0, v213, v195 dst_sel:DWORD dst_unused:UNUSED_PAD src0_sel:WORD_1 src1_sel:DWORD
	v_pk_fma_f16 v118, v112, v0, v206
	v_pk_fma_f16 v119, v113, v0, v207
	v_pk_fma_f16 v120, v124, v0, v208
	v_pk_fma_f16 v121, v1, v0, v209
	v_ashrrev_i32_e32 v0, 31, v177
	v_add_co_u32 v1, vcc_lo, s3, v177
	v_add_co_ci_u32_e64 v0, null, s11, v0, vcc_lo
	v_add_co_u32 v202, vcc_lo, v1, v197
	v_add_co_ci_u32_e64 v203, null, v0, v196, vcc_lo
	;; [unrolled: 2-line block ×3, first 2 shown]
	global_load_dword v112, v[204:205], off offset:2
	v_add_co_u32 v204, vcc_lo, v1, v199
	v_add_co_ci_u32_e64 v205, null, v0, v198, vcc_lo
	v_ashrrev_i32_e32 v1, 31, v179
	v_add_co_u32 v206, vcc_lo, v204, v193
	v_add_co_ci_u32_e64 v207, null, 0, v205, vcc_lo
	v_add_co_u32 v113, vcc_lo, s3, v179
	v_add_co_ci_u32_e64 v1, null, s11, v1, vcc_lo
	global_load_dword v0, v[206:207], off offset:2
	v_add_co_u32 v206, vcc_lo, v113, v197
	v_add_co_ci_u32_e64 v207, null, v1, v196, vcc_lo
	v_add_co_u32 v208, vcc_lo, v113, v199
	v_add_co_ci_u32_e64 v209, null, v1, v198, vcc_lo
	;; [unrolled: 2-line block ×3, first 2 shown]
	global_load_ushort v1, v[206:207], off
	v_add_co_u32 v206, vcc_lo, v208, v193
	v_add_co_ci_u32_e64 v207, null, 0, v209, vcc_lo
	s_clause 0x3
	global_load_dword v113, v[206:207], off offset:2
	global_load_dword v124, v[210:211], off offset:2
	global_load_ushort v125, v[204:205], off
	global_load_ushort v126, v[202:203], off
	ds_write_b128 v129, v[38:41]
	ds_write_b128 v129, v[118:121] offset:16
	s_waitcnt vmcnt(6)
	v_pk_lshrrev_b16 v130, 8, v112 op_sel:[1,0] op_sel_hi:[0,0]
	v_pk_lshrrev_b16 v112, 8, v112 op_sel:[1,1] op_sel_hi:[0,1]
	v_lshrrev_b32_e32 v147, 16, v130
	v_cvt_f16_i16_sdwa v130, sext(v130) dst_sel:DWORD dst_unused:UNUSED_PAD src0_sel:BYTE_0
	v_cvt_f16_i16_sdwa v147, sext(v147) dst_sel:DWORD dst_unused:UNUSED_PAD src0_sel:BYTE_0
	v_pack_b32_f16 v130, v130, v147
	v_lshrrev_b32_e32 v147, 16, v112
	v_cvt_f16_i16_sdwa v112, sext(v112) dst_sel:DWORD dst_unused:UNUSED_PAD src0_sel:BYTE_0
	v_cvt_f16_i16_sdwa v147, sext(v147) dst_sel:DWORD dst_unused:UNUSED_PAD src0_sel:BYTE_0
	v_pack_b32_f16 v112, v112, v147
	s_waitcnt vmcnt(5)
	v_pk_lshrrev_b16 v147, 8, v0 op_sel:[1,0] op_sel_hi:[0,0]
	v_pk_lshrrev_b16 v0, 8, v0 op_sel:[1,1] op_sel_hi:[0,1]
	s_waitcnt vmcnt(4)
	v_mul_u32_u24_e32 v1, 0x10001, v1
	v_lshrrev_b32_e32 v151, 16, v147
	v_cvt_f16_i16_sdwa v147, sext(v147) dst_sel:DWORD dst_unused:UNUSED_PAD src0_sel:BYTE_0
	s_waitcnt vmcnt(1)
	v_mul_u32_u24_e32 v125, 0x10001, v125
	s_waitcnt vmcnt(0)
	v_mul_u32_u24_e32 v126, 0x10001, v126
	v_cvt_f16_i16_sdwa v151, sext(v151) dst_sel:DWORD dst_unused:UNUSED_PAD src0_sel:BYTE_0
	v_pk_mul_f16 v130, v130, v126
	v_pk_mul_f16 v112, v112, v126
	v_pack_b32_f16 v147, v147, v151
	v_lshrrev_b32_e32 v151, 16, v0
	v_cvt_f16_i16_sdwa v0, sext(v0) dst_sel:DWORD dst_unused:UNUSED_PAD src0_sel:BYTE_0
	v_pk_mul_f16 v126, v147, v125
	v_cvt_f16_i16_sdwa v151, sext(v151) dst_sel:DWORD dst_unused:UNUSED_PAD src0_sel:BYTE_0
	v_pack_b32_f16 v0, v0, v151
	v_pk_mul_f16 v0, v0, v125
	v_mul_u32_u24_sdwa v125, v42, v195 dst_sel:DWORD dst_unused:UNUSED_PAD src0_sel:WORD_0 src1_sel:DWORD
	v_mul_u32_u24_sdwa v42, v42, v195 dst_sel:DWORD dst_unused:UNUSED_PAD src0_sel:WORD_1 src1_sel:DWORD
	v_pk_fma_f16 v205, v0, v125, v41
	s_waitcnt lgkmcnt(17)
	v_mul_u32_u24_sdwa v41, v34, v195 dst_sel:DWORD dst_unused:UNUSED_PAD src0_sel:WORD_0 src1_sel:DWORD
	v_pk_fma_f16 v202, v130, v125, v38
	v_pk_fma_f16 v203, v112, v125, v39
	;; [unrolled: 1-line block ×3, first 2 shown]
	v_mul_u32_u24_sdwa v34, v34, v195 dst_sel:DWORD dst_unused:UNUSED_PAD src0_sel:WORD_1 src1_sel:DWORD
	v_pk_fma_f16 v38, v130, v41, v118
	v_pk_fma_f16 v39, v112, v41, v119
	;; [unrolled: 1-line block ×4, first 2 shown]
	global_load_ushort v0, v[208:209], off
	v_pk_lshrrev_b16 v112, 8, v124 op_sel:[1,0] op_sel_hi:[0,0]
	ds_write_b128 v129, v[202:205]
	ds_write_b128 v129, v[38:41] offset:16
	v_lshrrev_b32_e32 v118, 16, v112
	v_cvt_f16_i16_sdwa v112, sext(v112) dst_sel:DWORD dst_unused:UNUSED_PAD src0_sel:BYTE_0
	v_cvt_f16_i16_sdwa v118, sext(v118) dst_sel:DWORD dst_unused:UNUSED_PAD src0_sel:BYTE_0
	v_pack_b32_f16 v112, v112, v118
	v_pk_lshrrev_b16 v118, 8, v124 op_sel:[1,1] op_sel_hi:[0,1]
	v_pk_mul_f16 v112, v112, v1
	v_lshrrev_b32_e32 v119, 16, v118
	v_cvt_f16_i16_sdwa v118, sext(v118) dst_sel:DWORD dst_unused:UNUSED_PAD src0_sel:BYTE_0
	v_cvt_f16_i16_sdwa v119, sext(v119) dst_sel:DWORD dst_unused:UNUSED_PAD src0_sel:BYTE_0
	v_pack_b32_f16 v118, v118, v119
	v_pk_lshrrev_b16 v119, 8, v113 op_sel:[1,0] op_sel_hi:[0,0]
	v_pk_lshrrev_b16 v113, 8, v113 op_sel:[1,1] op_sel_hi:[0,1]
	v_pk_mul_f16 v1, v118, v1
	v_lshrrev_b32_e32 v120, 16, v119
	v_cvt_f16_i16_sdwa v119, sext(v119) dst_sel:DWORD dst_unused:UNUSED_PAD src0_sel:BYTE_0
	v_pk_fma_f16 v118, v112, v42, v202
	v_pk_fma_f16 v202, v112, v34, v38
	v_cvt_f16_i16_sdwa v120, sext(v120) dst_sel:DWORD dst_unused:UNUSED_PAD src0_sel:BYTE_0
	v_pack_b32_f16 v119, v119, v120
	v_lshrrev_b32_e32 v120, 16, v113
	v_cvt_f16_i16_sdwa v113, sext(v113) dst_sel:DWORD dst_unused:UNUSED_PAD src0_sel:BYTE_0
	v_cvt_f16_i16_sdwa v120, sext(v120) dst_sel:DWORD dst_unused:UNUSED_PAD src0_sel:BYTE_0
	v_pack_b32_f16 v113, v113, v120
	s_waitcnt vmcnt(0)
	v_mul_u32_u24_e32 v0, 0x10001, v0
	v_pk_mul_f16 v124, v119, v0
	v_pk_mul_f16 v0, v113, v0
	v_pk_fma_f16 v119, v1, v42, v203
	v_pk_fma_f16 v203, v1, v34, v39
	v_add_co_u32 v1, vcc_lo, s3, v180
	v_pk_fma_f16 v121, v0, v42, v205
	v_pk_fma_f16 v205, v0, v34, v41
	v_ashrrev_i32_e32 v0, 31, v180
	v_pk_fma_f16 v120, v124, v42, v204
	v_pk_fma_f16 v204, v124, v34, v40
	v_add_co_ci_u32_e64 v0, null, s11, v0, vcc_lo
	v_add_co_u32 v38, vcc_lo, v1, v197
	v_add_co_ci_u32_e64 v39, null, v0, v196, vcc_lo
	v_add_co_u32 v40, vcc_lo, v38, v190
	v_add_co_ci_u32_e64 v41, null, 0, v39, vcc_lo
	global_load_dword v34, v[40:41], off offset:2
	v_add_co_u32 v40, vcc_lo, v1, v199
	v_add_co_ci_u32_e64 v41, null, v0, v198, vcc_lo
	v_ashrrev_i32_e32 v1, 31, v181
	v_add_co_u32 v206, vcc_lo, v40, v193
	v_add_co_ci_u32_e64 v207, null, 0, v41, vcc_lo
	v_add_co_u32 v42, vcc_lo, s3, v181
	v_add_co_ci_u32_e64 v1, null, s11, v1, vcc_lo
	global_load_dword v0, v[206:207], off offset:2
	v_add_co_u32 v206, vcc_lo, v42, v197
	v_add_co_ci_u32_e64 v207, null, v1, v196, vcc_lo
	v_add_co_u32 v208, vcc_lo, v42, v199
	v_add_co_ci_u32_e64 v209, null, v1, v198, vcc_lo
	;; [unrolled: 2-line block ×3, first 2 shown]
	global_load_ushort v1, v[206:207], off
	v_add_co_u32 v206, vcc_lo, v208, v193
	v_add_co_ci_u32_e64 v207, null, 0, v209, vcc_lo
	s_clause 0x3
	global_load_dword v42, v[206:207], off offset:2
	global_load_dword v112, v[210:211], off offset:2
	global_load_ushort v40, v[40:41], off
	global_load_ushort v38, v[38:39], off
	ds_write_b128 v129, v[118:121]
	ds_write_b128 v129, v[202:205] offset:16
	s_waitcnt vmcnt(6)
	v_pk_lshrrev_b16 v39, 8, v34 op_sel:[1,0] op_sel_hi:[0,0]
	v_pk_lshrrev_b16 v34, 8, v34 op_sel:[1,1] op_sel_hi:[0,1]
	v_lshrrev_b32_e32 v41, 16, v39
	v_cvt_f16_i16_sdwa v39, sext(v39) dst_sel:DWORD dst_unused:UNUSED_PAD src0_sel:BYTE_0
	v_cvt_f16_i16_sdwa v41, sext(v41) dst_sel:DWORD dst_unused:UNUSED_PAD src0_sel:BYTE_0
	v_pack_b32_f16 v39, v39, v41
	v_lshrrev_b32_e32 v41, 16, v34
	v_cvt_f16_i16_sdwa v34, sext(v34) dst_sel:DWORD dst_unused:UNUSED_PAD src0_sel:BYTE_0
	v_cvt_f16_i16_sdwa v41, sext(v41) dst_sel:DWORD dst_unused:UNUSED_PAD src0_sel:BYTE_0
	v_pack_b32_f16 v34, v34, v41
	s_waitcnt vmcnt(5)
	v_pk_lshrrev_b16 v41, 8, v0 op_sel:[1,0] op_sel_hi:[0,0]
	v_pk_lshrrev_b16 v0, 8, v0 op_sel:[1,1] op_sel_hi:[0,1]
	s_waitcnt vmcnt(4)
	v_mul_u32_u24_e32 v1, 0x10001, v1
	v_lshrrev_b32_e32 v113, 16, v41
	v_cvt_f16_i16_sdwa v41, sext(v41) dst_sel:DWORD dst_unused:UNUSED_PAD src0_sel:BYTE_0
	s_waitcnt vmcnt(0)
	v_mul_u32_u24_e32 v38, 0x10001, v38
	v_cvt_f16_i16_sdwa v113, sext(v113) dst_sel:DWORD dst_unused:UNUSED_PAD src0_sel:BYTE_0
	v_pk_mul_f16 v34, v34, v38
	v_pack_b32_f16 v41, v41, v113
	v_lshrrev_b32_e32 v113, 16, v0
	v_cvt_f16_i16_sdwa v0, sext(v0) dst_sel:DWORD dst_unused:UNUSED_PAD src0_sel:BYTE_0
	v_cvt_f16_i16_sdwa v113, sext(v113) dst_sel:DWORD dst_unused:UNUSED_PAD src0_sel:BYTE_0
	v_pack_b32_f16 v0, v0, v113
	v_pk_mul_f16 v113, v39, v38
	v_mul_u32_u24_e32 v38, 0x10001, v40
	v_pk_mul_f16 v124, v41, v38
	v_pk_mul_f16 v0, v0, v38
	v_mul_u32_u24_sdwa v41, v43, v195 dst_sel:DWORD dst_unused:UNUSED_PAD src0_sel:WORD_0 src1_sel:DWORD
	v_pk_fma_f16 v38, v113, v41, v118
	v_pk_fma_f16 v39, v34, v41, v119
	;; [unrolled: 1-line block ×4, first 2 shown]
	v_mul_u32_u24_sdwa v121, v35, v195 dst_sel:DWORD dst_unused:UNUSED_PAD src0_sel:WORD_0 src1_sel:DWORD
	v_mul_u32_u24_sdwa v35, v35, v195 dst_sel:DWORD dst_unused:UNUSED_PAD src0_sel:WORD_1 src1_sel:DWORD
	ds_write_b128 v129, v[38:41]
	v_pk_fma_f16 v118, v113, v121, v202
	v_pk_fma_f16 v119, v34, v121, v203
	;; [unrolled: 1-line block ×4, first 2 shown]
	global_load_ushort v0, v[208:209], off
	v_pk_lshrrev_b16 v34, 8, v112 op_sel:[1,0] op_sel_hi:[0,0]
	v_pk_lshrrev_b16 v112, 8, v112 op_sel:[1,1] op_sel_hi:[0,1]
	ds_write_b128 v129, v[118:121] offset:16
	v_lshrrev_b32_e32 v113, 16, v34
	v_cvt_f16_i16_sdwa v34, sext(v34) dst_sel:DWORD dst_unused:UNUSED_PAD src0_sel:BYTE_0
	v_cvt_f16_i16_sdwa v113, sext(v113) dst_sel:DWORD dst_unused:UNUSED_PAD src0_sel:BYTE_0
	v_pack_b32_f16 v34, v34, v113
	v_lshrrev_b32_e32 v113, 16, v112
	v_cvt_f16_i16_sdwa v112, sext(v112) dst_sel:DWORD dst_unused:UNUSED_PAD src0_sel:BYTE_0
	v_pk_mul_f16 v34, v34, v1
	v_cvt_f16_i16_sdwa v113, sext(v113) dst_sel:DWORD dst_unused:UNUSED_PAD src0_sel:BYTE_0
	v_pack_b32_f16 v112, v112, v113
	v_pk_mul_f16 v1, v112, v1
	v_pk_lshrrev_b16 v112, 8, v42 op_sel:[1,0] op_sel_hi:[0,0]
	v_pk_lshrrev_b16 v42, 8, v42 op_sel:[1,1] op_sel_hi:[0,1]
	v_lshrrev_b32_e32 v113, 16, v112
	v_cvt_f16_i16_sdwa v112, sext(v112) dst_sel:DWORD dst_unused:UNUSED_PAD src0_sel:BYTE_0
	v_cvt_f16_i16_sdwa v113, sext(v113) dst_sel:DWORD dst_unused:UNUSED_PAD src0_sel:BYTE_0
	v_pack_b32_f16 v112, v112, v113
	v_lshrrev_b32_e32 v113, 16, v42
	v_cvt_f16_i16_sdwa v42, sext(v42) dst_sel:DWORD dst_unused:UNUSED_PAD src0_sel:BYTE_0
	v_cvt_f16_i16_sdwa v113, sext(v113) dst_sel:DWORD dst_unused:UNUSED_PAD src0_sel:BYTE_0
	v_pack_b32_f16 v42, v42, v113
	s_waitcnt vmcnt(0)
	v_mul_u32_u24_e32 v0, 0x10001, v0
	v_pk_mul_f16 v112, v112, v0
	v_pk_mul_f16 v0, v42, v0
	v_mul_u32_u24_sdwa v42, v43, v195 dst_sel:DWORD dst_unused:UNUSED_PAD src0_sel:WORD_1 src1_sel:DWORD
	v_pk_fma_f16 v205, v0, v42, v41
	v_pk_fma_f16 v41, v0, v35, v121
	v_ashrrev_i32_e32 v0, 31, v183
	v_pk_fma_f16 v203, v1, v42, v39
	v_pk_fma_f16 v39, v1, v35, v119
	v_add_co_u32 v1, vcc_lo, s3, v183
	v_add_co_ci_u32_e64 v0, null, s11, v0, vcc_lo
	v_pk_fma_f16 v202, v34, v42, v38
	v_pk_fma_f16 v38, v34, v35, v118
	v_add_co_u32 v34, vcc_lo, v1, v197
	v_pk_fma_f16 v204, v112, v42, v40
	v_pk_fma_f16 v40, v112, v35, v120
	v_add_co_ci_u32_e64 v35, null, v0, v196, vcc_lo
	v_add_co_u32 v42, vcc_lo, v34, v190
	v_add_co_ci_u32_e64 v43, null, 0, v35, vcc_lo
	global_load_dword v112, v[42:43], off offset:2
	v_add_co_u32 v42, vcc_lo, v1, v199
	v_add_co_ci_u32_e64 v43, null, v0, v198, vcc_lo
	v_ashrrev_i32_e32 v1, 31, v187
	v_add_co_u32 v118, vcc_lo, v42, v193
	v_add_co_ci_u32_e64 v119, null, 0, v43, vcc_lo
	v_add_co_u32 v113, vcc_lo, s3, v187
	v_add_co_ci_u32_e64 v1, null, s11, v1, vcc_lo
	global_load_dword v0, v[118:119], off offset:2
	v_add_co_u32 v118, vcc_lo, v113, v197
	v_add_co_ci_u32_e64 v119, null, v1, v196, vcc_lo
	v_add_co_u32 v206, vcc_lo, v113, v199
	v_add_co_ci_u32_e64 v207, null, v1, v198, vcc_lo
	;; [unrolled: 2-line block ×3, first 2 shown]
	global_load_ushort v1, v[118:119], off
	v_add_co_u32 v118, vcc_lo, v206, v193
	v_add_co_ci_u32_e64 v119, null, 0, v207, vcc_lo
	s_clause 0x3
	global_load_dword v113, v[118:119], off offset:2
	global_load_dword v124, v[120:121], off offset:2
	global_load_ushort v42, v[42:43], off
	global_load_ushort v34, v[34:35], off
	ds_write_b128 v129, v[202:205]
	ds_write_b128 v129, v[38:41] offset:16
	s_waitcnt vmcnt(6)
	v_pk_lshrrev_b16 v35, 8, v112 op_sel:[1,0] op_sel_hi:[0,0]
	v_lshrrev_b32_e32 v43, 16, v35
	v_cvt_f16_i16_sdwa v35, sext(v35) dst_sel:DWORD dst_unused:UNUSED_PAD src0_sel:BYTE_0
	v_cvt_f16_i16_sdwa v43, sext(v43) dst_sel:DWORD dst_unused:UNUSED_PAD src0_sel:BYTE_0
	v_pack_b32_f16 v35, v35, v43
	v_pk_lshrrev_b16 v43, 8, v112 op_sel:[1,1] op_sel_hi:[0,1]
	v_lshrrev_b32_e32 v112, 16, v43
	v_cvt_f16_i16_sdwa v43, sext(v43) dst_sel:DWORD dst_unused:UNUSED_PAD src0_sel:BYTE_0
	v_cvt_f16_i16_sdwa v112, sext(v112) dst_sel:DWORD dst_unused:UNUSED_PAD src0_sel:BYTE_0
	s_waitcnt vmcnt(4)
	v_mul_u32_u24_e32 v1, 0x10001, v1
	v_pack_b32_f16 v43, v43, v112
	v_pk_lshrrev_b16 v112, 8, v0 op_sel:[1,0] op_sel_hi:[0,0]
	v_pk_lshrrev_b16 v0, 8, v0 op_sel:[1,1] op_sel_hi:[0,1]
	s_waitcnt vmcnt(1)
	v_mul_u32_u24_e32 v42, 0x10001, v42
	s_waitcnt vmcnt(0)
	v_mul_u32_u24_e32 v34, 0x10001, v34
	v_lshrrev_b32_e32 v118, 16, v112
	v_cvt_f16_i16_sdwa v112, sext(v112) dst_sel:DWORD dst_unused:UNUSED_PAD src0_sel:BYTE_0
	v_pk_mul_f16 v35, v35, v34
	v_pk_mul_f16 v34, v43, v34
	v_cvt_f16_i16_sdwa v118, sext(v118) dst_sel:DWORD dst_unused:UNUSED_PAD src0_sel:BYTE_0
	v_pack_b32_f16 v112, v112, v118
	v_lshrrev_b32_e32 v118, 16, v0
	v_cvt_f16_i16_sdwa v0, sext(v0) dst_sel:DWORD dst_unused:UNUSED_PAD src0_sel:BYTE_0
	v_pk_mul_f16 v43, v112, v42
	v_cvt_f16_i16_sdwa v118, sext(v118) dst_sel:DWORD dst_unused:UNUSED_PAD src0_sel:BYTE_0
	v_pack_b32_f16 v0, v0, v118
	v_pk_mul_f16 v0, v0, v42
	v_mul_u32_u24_sdwa v42, v44, v195 dst_sel:DWORD dst_unused:UNUSED_PAD src0_sel:WORD_0 src1_sel:DWORD
	v_pk_fma_f16 v118, v35, v42, v202
	v_pk_fma_f16 v119, v34, v42, v203
	v_pk_fma_f16 v120, v43, v42, v204
	v_pk_fma_f16 v121, v0, v42, v205
	v_mul_u32_u24_sdwa v42, v36, v195 dst_sel:DWORD dst_unused:UNUSED_PAD src0_sel:WORD_0 src1_sel:DWORD
	v_mul_u32_u24_sdwa v36, v36, v195 dst_sel:DWORD dst_unused:UNUSED_PAD src0_sel:WORD_1 src1_sel:DWORD
	ds_write_b128 v129, v[118:121]
	v_pk_fma_f16 v205, v0, v42, v41
	global_load_ushort v0, v[206:207], off
	v_pk_fma_f16 v203, v34, v42, v39
	v_pk_lshrrev_b16 v34, 8, v124 op_sel:[1,0] op_sel_hi:[0,0]
	v_pk_fma_f16 v202, v35, v42, v38
	v_pk_fma_f16 v204, v43, v42, v40
	v_mul_u32_u24_sdwa v41, v44, v195 dst_sel:DWORD dst_unused:UNUSED_PAD src0_sel:WORD_1 src1_sel:DWORD
	v_lshrrev_b32_e32 v35, 16, v34
	v_cvt_f16_i16_sdwa v34, sext(v34) dst_sel:DWORD dst_unused:UNUSED_PAD src0_sel:BYTE_0
	ds_write_b128 v129, v[202:205] offset:16
	v_cvt_f16_i16_sdwa v35, sext(v35) dst_sel:DWORD dst_unused:UNUSED_PAD src0_sel:BYTE_0
	v_pack_b32_f16 v34, v34, v35
	v_pk_lshrrev_b16 v35, 8, v124 op_sel:[1,1] op_sel_hi:[0,1]
	v_pk_mul_f16 v34, v34, v1
	v_lshrrev_b32_e32 v38, 16, v35
	v_cvt_f16_i16_sdwa v35, sext(v35) dst_sel:DWORD dst_unused:UNUSED_PAD src0_sel:BYTE_0
	v_cvt_f16_i16_sdwa v38, sext(v38) dst_sel:DWORD dst_unused:UNUSED_PAD src0_sel:BYTE_0
	v_pack_b32_f16 v35, v35, v38
	v_pk_lshrrev_b16 v38, 8, v113 op_sel:[1,0] op_sel_hi:[0,0]
	v_pk_mul_f16 v1, v35, v1
	v_lshrrev_b32_e32 v39, 16, v38
	v_cvt_f16_i16_sdwa v38, sext(v38) dst_sel:DWORD dst_unused:UNUSED_PAD src0_sel:BYTE_0
	v_cvt_f16_i16_sdwa v39, sext(v39) dst_sel:DWORD dst_unused:UNUSED_PAD src0_sel:BYTE_0
	v_pack_b32_f16 v38, v38, v39
	v_pk_lshrrev_b16 v39, 8, v113 op_sel:[1,1] op_sel_hi:[0,1]
	v_lshrrev_b32_e32 v40, 16, v39
	v_cvt_f16_i16_sdwa v39, sext(v39) dst_sel:DWORD dst_unused:UNUSED_PAD src0_sel:BYTE_0
	v_cvt_f16_i16_sdwa v40, sext(v40) dst_sel:DWORD dst_unused:UNUSED_PAD src0_sel:BYTE_0
	v_pack_b32_f16 v39, v39, v40
	s_waitcnt vmcnt(0)
	v_mul_u32_u24_e32 v0, 0x10001, v0
	v_pk_mul_f16 v35, v38, v0
	v_pk_mul_f16 v0, v39, v0
	v_pk_fma_f16 v38, v34, v41, v118
	v_pk_fma_f16 v39, v1, v41, v119
	;; [unrolled: 1-line block ×6, first 2 shown]
	v_ashrrev_i32_e32 v0, 31, v192
	v_add_co_u32 v1, vcc_lo, s3, v192
	v_pk_fma_f16 v118, v34, v36, v202
	v_pk_fma_f16 v120, v35, v36, v204
	v_add_co_ci_u32_e64 v0, null, s11, v0, vcc_lo
	v_add_co_u32 v34, vcc_lo, v1, v197
	v_add_co_ci_u32_e64 v35, null, v0, v196, vcc_lo
	v_add_co_u32 v42, vcc_lo, v1, v199
	v_add_co_ci_u32_e64 v43, null, v0, v198, vcc_lo
	v_ashrrev_i32_e32 v0, 31, v194
	v_add_co_u32 v1, vcc_lo, s3, v194
	s_add_u32 s3, s3, s17
	v_add_co_ci_u32_e64 v0, null, s11, v0, vcc_lo
	v_add_co_u32 v202, vcc_lo, v1, v197
	s_addc_u32 s11, s11, 0
	v_add_co_ci_u32_e64 v203, null, v0, v196, vcc_lo
	v_add_co_u32 v204, vcc_lo, v1, v199
	v_add_co_ci_u32_e64 v205, null, v0, v198, vcc_lo
	v_add_co_u32 v196, vcc_lo, v34, v190
	v_add_co_ci_u32_e64 v197, null, 0, v35, vcc_lo
	global_load_ushort v36, v[202:203], off
	s_lshl_b64 s[22:23], s[8:9], 1
	global_load_dword v0, v[196:197], off offset:2
	v_add_co_u32 v196, vcc_lo, v42, v193
	v_add_co_ci_u32_e64 v197, null, 0, v43, vcc_lo
	s_add_u32 s4, s4, s22
	s_addc_u32 s5, s5, s23
	s_cmp_ge_i32 s2, s39
	global_load_dword v1, v[196:197], off offset:2
	v_add_co_u32 v196, vcc_lo, v202, v190
	v_add_co_ci_u32_e64 v197, null, 0, v203, vcc_lo
	v_add_co_u32 v198, vcc_lo, v204, v193
	v_add_co_ci_u32_e64 v199, null, 0, v205, vcc_lo
	s_clause 0x3
	global_load_dword v44, v[198:199], off offset:2
	global_load_dword v112, v[196:197], off offset:2
	global_load_ushort v42, v[42:43], off
	global_load_ushort v34, v[34:35], off
	ds_write_b128 v129, v[38:41]
	ds_write_b128 v129, v[118:121] offset:16
	s_waitcnt vmcnt(6)
	v_mul_u32_u24_e32 v36, 0x10001, v36
	s_waitcnt vmcnt(5)
	v_pk_lshrrev_b16 v35, 8, v0 op_sel:[1,0] op_sel_hi:[0,0]
	v_pk_lshrrev_b16 v0, 8, v0 op_sel:[1,1] op_sel_hi:[0,1]
	v_lshrrev_b32_e32 v43, 16, v35
	v_cvt_f16_i16_sdwa v35, sext(v35) dst_sel:DWORD dst_unused:UNUSED_PAD src0_sel:BYTE_0
	v_cvt_f16_i16_sdwa v43, sext(v43) dst_sel:DWORD dst_unused:UNUSED_PAD src0_sel:BYTE_0
	v_pack_b32_f16 v35, v35, v43
	v_lshrrev_b32_e32 v43, 16, v0
	v_cvt_f16_i16_sdwa v0, sext(v0) dst_sel:DWORD dst_unused:UNUSED_PAD src0_sel:BYTE_0
	s_waitcnt vmcnt(0)
	v_mul_u32_u24_e32 v34, 0x10001, v34
	v_cvt_f16_i16_sdwa v43, sext(v43) dst_sel:DWORD dst_unused:UNUSED_PAD src0_sel:BYTE_0
	v_pk_mul_f16 v35, v35, v34
	v_pack_b32_f16 v0, v0, v43
	v_pk_lshrrev_b16 v43, 8, v1 op_sel:[1,0] op_sel_hi:[0,0]
	v_pk_lshrrev_b16 v1, 8, v1 op_sel:[1,1] op_sel_hi:[0,1]
	v_pk_mul_f16 v0, v0, v34
	v_lshrrev_b32_e32 v113, 16, v43
	v_lshrrev_b32_e32 v34, 16, v1
	v_cvt_f16_i16_sdwa v43, sext(v43) dst_sel:DWORD dst_unused:UNUSED_PAD src0_sel:BYTE_0
	v_cvt_f16_i16_sdwa v1, sext(v1) dst_sel:DWORD dst_unused:UNUSED_PAD src0_sel:BYTE_0
	;; [unrolled: 1-line block ×4, first 2 shown]
	v_pack_b32_f16 v43, v43, v113
	v_pack_b32_f16 v1, v1, v34
	v_mul_u32_u24_e32 v34, 0x10001, v42
	v_mov_b32_e32 v113, v115
	v_pk_mul_f16 v42, v43, v34
	v_pk_mul_f16 v1, v1, v34
	v_mul_u32_u24_sdwa v34, v45, v195 dst_sel:DWORD dst_unused:UNUSED_PAD src0_sel:WORD_0 src1_sel:DWORD
	v_pk_lshrrev_b16 v43, 8, v44 op_sel:[1,1] op_sel_hi:[0,1]
	v_mul_u32_u24_sdwa v45, v45, v195 dst_sel:DWORD dst_unused:UNUSED_PAD src0_sel:WORD_1 src1_sel:DWORD
	v_pk_fma_f16 v196, v35, v34, v38
	v_pk_fma_f16 v197, v0, v34, v39
	;; [unrolled: 1-line block ×4, first 2 shown]
	global_load_ushort v34, v[204:205], off
	v_mul_u32_u24_sdwa v41, v37, v195 dst_sel:DWORD dst_unused:UNUSED_PAD src0_sel:WORD_0 src1_sel:DWORD
	ds_write_b128 v129, v[196:199]
	v_pk_fma_f16 v39, v0, v41, v119
	v_pk_lshrrev_b16 v0, 8, v112 op_sel:[1,0] op_sel_hi:[0,0]
	v_pk_fma_f16 v38, v35, v41, v118
	v_pk_fma_f16 v40, v42, v41, v120
	;; [unrolled: 1-line block ×3, first 2 shown]
	v_pk_lshrrev_b16 v35, 8, v112 op_sel:[1,1] op_sel_hi:[0,1]
	v_lshrrev_b32_e32 v1, 16, v0
	v_cvt_f16_i16_sdwa v0, sext(v0) dst_sel:DWORD dst_unused:UNUSED_PAD src0_sel:BYTE_0
	v_mov_b32_e32 v112, v114
	ds_write_b128 v129, v[38:41] offset:16
	v_lshrrev_b32_e32 v42, 16, v35
	v_cvt_f16_i16_sdwa v1, sext(v1) dst_sel:DWORD dst_unused:UNUSED_PAD src0_sel:BYTE_0
	v_pack_b32_f16 v0, v0, v1
	v_cvt_f16_i16_sdwa v1, sext(v35) dst_sel:DWORD dst_unused:UNUSED_PAD src0_sel:BYTE_0
	v_cvt_f16_i16_sdwa v35, sext(v42) dst_sel:DWORD dst_unused:UNUSED_PAD src0_sel:BYTE_0
	v_pk_lshrrev_b16 v42, 8, v44 op_sel:[1,0] op_sel_hi:[0,0]
	v_pk_mul_f16 v0, v0, v36
	v_pack_b32_f16 v1, v1, v35
	v_lshrrev_b32_e32 v35, 16, v42
	v_cvt_f16_i16_sdwa v42, sext(v42) dst_sel:DWORD dst_unused:UNUSED_PAD src0_sel:BYTE_0
	v_pk_mul_f16 v1, v1, v36
	v_cvt_f16_i16_sdwa v35, sext(v35) dst_sel:DWORD dst_unused:UNUSED_PAD src0_sel:BYTE_0
	v_mul_u32_u24_sdwa v36, v37, v195 dst_sel:DWORD dst_unused:UNUSED_PAD src0_sel:WORD_1 src1_sel:DWORD
	v_pack_b32_f16 v35, v42, v35
	v_lshrrev_b32_e32 v42, 16, v43
	v_cvt_f16_i16_sdwa v43, sext(v43) dst_sel:DWORD dst_unused:UNUSED_PAD src0_sel:BYTE_0
	v_pk_fma_f16 v118, v0, v36, v38
	v_pk_fma_f16 v119, v1, v36, v39
	v_cvt_f16_i16_sdwa v42, sext(v42) dst_sel:DWORD dst_unused:UNUSED_PAD src0_sel:BYTE_0
	v_pack_b32_f16 v42, v43, v42
	v_pk_fma_f16 v43, v1, v45, v197
	s_waitcnt vmcnt(0)
	v_mul_u32_u24_e32 v34, 0x10001, v34
	v_pk_mul_f16 v35, v35, v34
	v_pk_mul_f16 v34, v42, v34
	v_pk_fma_f16 v42, v0, v45, v196
	v_pk_fma_f16 v44, v35, v45, v198
	;; [unrolled: 1-line block ×5, first 2 shown]
	v_mov_b32_e32 v34, v116
	v_mov_b32_e32 v35, v117
	ds_write_b128 v129, v[42:45]
	ds_write_b128 v129, v[118:121] offset:16
	s_cbranch_scc1 .LBB31_46
.LBB31_22:                              ; =>This Inner Loop Header: Depth=1
	v_ashrrev_i32_e32 v36, 31, v173
	v_add_co_u32 v116, vcc_lo, s14, v173
	v_add_co_ci_u32_e64 v117, null, s15, v36, vcc_lo
	v_add_co_u32 v44, vcc_lo, v116, v131
	global_load_dwordx2 v[42:43], v[116:117], off
	v_add_co_ci_u32_e64 v45, null, 0, v117, vcc_lo
	s_clause 0x2
	global_load_dwordx2 v[36:37], v[116:117], off offset:24
	global_load_dwordx2 v[38:39], v[116:117], off offset:48
	;; [unrolled: 1-line block ×3, first 2 shown]
	v_add_co_u32 v216, vcc_lo, v116, v113
	v_add_co_ci_u32_e64 v217, null, 0, v117, vcc_lo
	v_add_co_u32 v230, vcc_lo, v116, v153
	v_add_co_ci_u32_e64 v231, null, 0, v117, vcc_lo
	;; [unrolled: 2-line block ×8, first 2 shown]
	s_waitcnt vmcnt(3)
	v_ashrrev_i32_e32 v196, v131, v43
	v_ashrrev_i32_e32 v211, v148, v43
	;; [unrolled: 1-line block ×4, first 2 shown]
	s_waitcnt vmcnt(2)
	v_ashrrev_i32_e32 v200, v148, v37
	v_lshlrev_b32_e32 v118, 18, v196
	v_ashrrev_i32_e32 v202, v150, v37
	s_waitcnt vmcnt(1)
	v_ashrrev_i32_e32 v204, v131, v39
	v_ashrrev_i32_e32 v208, v148, v39
	;; [unrolled: 1-line block ×3, first 2 shown]
	v_and_b32_e32 v119, 0x100000, v118
	v_lshlrev_b32_e32 v118, 25, v196
	v_ashrrev_i32_e32 v39, v157, v39
	s_waitcnt vmcnt(0)
	v_ashrrev_i32_e32 v222, v131, v41
	v_ashrrev_i32_e32 v225, v148, v41
	;; [unrolled: 1-line block ×3, first 2 shown]
	v_and_b32_e32 v120, 0x10000000, v118
	s_clause 0x4
	global_load_dword v118, v[44:45], off offset:8
	global_load_dword v121, v[44:45], off offset:80
	;; [unrolled: 1-line block ×5, first 2 shown]
	v_ashrrev_i32_e32 v41, v160, v41
	s_waitcnt vmcnt(4)
	v_and_b32_e32 v197, 0xf0f0f0f, v118
	v_lshrrev_b32_e32 v118, 4, v118
	s_waitcnt vmcnt(0)
	v_and_b32_e32 v206, 0xf0f0f0f, v206
	v_or3_b32 v209, v120, v197, v119
	v_lshlrev_b32_e32 v119, 4, v211
	v_lshlrev_b32_e32 v120, 18, v211
	;; [unrolled: 1-line block ×3, first 2 shown]
	v_and_b32_e32 v118, 0xf0f0f0f, v118
	v_and_b32_e32 v119, 16, v119
	;; [unrolled: 1-line block ×4, first 2 shown]
	v_or3_b32 v212, v120, v197, v119
	v_lshlrev_b32_e32 v119, 18, v213
	v_lshlrev_b32_e32 v120, 25, v213
	v_ashrrev_i32_e32 v197, v131, v37
	v_ashrrev_i32_e32 v37, v154, v37
	v_and_b32_e32 v119, 0x100000, v119
	v_and_b32_e32 v120, 0x10000000, v120
	v_or3_b32 v215, v120, v118, v119
	v_lshlrev_b32_e32 v118, 4, v43
	v_lshlrev_b32_e32 v119, 18, v43
	v_lshlrev_b32_e32 v120, 25, v43
	v_lshlrev_b32_e32 v43, 11, v43
	v_and_b32_e32 v118, 16, v118
	v_and_b32_e32 v119, 0x100000, v119
	v_and_b32_e32 v120, 0x10000000, v120
	v_and_b32_e32 v43, 0x1000, v43
	v_or3_b32 v198, v119, v120, v118
	v_lshlrev_b32_e32 v118, 18, v197
	v_lshlrev_b32_e32 v119, 25, v197
	v_and_b32_e32 v120, 0xf0f0f0f, v123
	v_and_b32_e32 v118, 0x100000, v118
	v_and_b32_e32 v119, 0x10000000, v119
	v_or3_b32 v199, v119, v120, v118
	v_lshlrev_b32_e32 v118, 4, v200
	v_lshlrev_b32_e32 v119, 18, v200
	v_lshlrev_b32_e32 v120, 25, v200
	v_and_b32_e32 v118, 16, v118
	v_and_b32_e32 v119, 0x100000, v119
	v_and_b32_e32 v120, 0x10000000, v120
	v_or3_b32 v201, v119, v120, v118
	v_lshrrev_b32_e32 v118, 4, v123
	v_lshlrev_b32_e32 v119, 18, v202
	v_lshlrev_b32_e32 v120, 25, v202
	v_and_b32_e32 v118, 0xf0f0f0f, v118
	v_and_b32_e32 v119, 0x100000, v119
	v_and_b32_e32 v120, 0x10000000, v120
	v_or3_b32 v203, v120, v118, v119
	v_lshlrev_b32_e32 v118, 4, v37
	v_lshlrev_b32_e32 v119, 18, v37
	v_lshlrev_b32_e32 v120, 25, v37
	v_lshlrev_b32_e32 v37, 11, v37
	v_and_b32_e32 v118, 16, v118
	v_and_b32_e32 v119, 0x100000, v119
	v_and_b32_e32 v120, 0x10000000, v120
	v_and_b32_e32 v37, 0x1000, v37
	v_or3_b32 v205, v119, v120, v118
	v_lshlrev_b32_e32 v118, 18, v204
	v_lshlrev_b32_e32 v119, 25, v204
	v_and_b32_e32 v120, 0xf0f0f0f, v122
	v_and_b32_e32 v118, 0x100000, v118
	v_and_b32_e32 v119, 0x10000000, v119
	v_or3_b32 v207, v119, v120, v118
	v_lshlrev_b32_e32 v118, 4, v208
	v_lshlrev_b32_e32 v119, 18, v208
	v_lshlrev_b32_e32 v120, 25, v208
	v_and_b32_e32 v118, 16, v118
	v_and_b32_e32 v119, 0x100000, v119
	v_and_b32_e32 v120, 0x10000000, v120
	v_or3_b32 v210, v119, v120, v118
	v_lshrrev_b32_e32 v118, 4, v122
	v_lshlrev_b32_e32 v119, 18, v220
	v_lshlrev_b32_e32 v120, 25, v220
	v_and_b32_e32 v118, 0xf0f0f0f, v118
	;; [unrolled: 29-line block ×3, first 2 shown]
	v_and_b32_e32 v119, 0x100000, v119
	v_and_b32_e32 v120, 0x10000000, v120
	v_or3_b32 v228, v120, v118, v119
	v_lshlrev_b32_e32 v118, 4, v41
	v_lshlrev_b32_e32 v119, 18, v41
	v_lshlrev_b32_e32 v120, 25, v41
	v_and_b32_e32 v118, 16, v118
	v_and_b32_e32 v119, 0x100000, v119
	;; [unrolled: 1-line block ×3, first 2 shown]
	v_or3_b32 v229, v119, v120, v118
	s_clause 0xa
	global_load_dwordx2 v[122:123], v[116:117], off offset:96
	global_load_dwordx2 v[120:121], v[116:117], off offset:120
	;; [unrolled: 1-line block ×4, first 2 shown]
	global_load_dword v219, v[44:45], off offset:104
	global_load_dword v245, v[44:45], off offset:152
	;; [unrolled: 1-line block ×7, first 2 shown]
	s_waitcnt vmcnt(6)
	v_and_b32_e32 v251, 0xf0f0f0f, v219
	v_ashrrev_i32_e32 v244, v131, v123
	v_ashrrev_i32_e32 v252, v148, v123
	;; [unrolled: 1-line block ×5, first 2 shown]
	v_lshlrev_b32_e32 v214, 18, v244
	v_lshlrev_b32_e32 v218, 25, v244
	;; [unrolled: 1-line block ×3, first 2 shown]
	v_ashrrev_i32_e32 v130, v148, v121
	v_and_b32_e32 v214, 0x100000, v214
	v_and_b32_e32 v218, 0x10000000, v218
	;; [unrolled: 1-line block ×3, first 2 shown]
	v_or3_b32 v251, v218, v251, v214
	v_lshlrev_b32_e32 v214, 4, v252
	v_lshlrev_b32_e32 v218, 18, v252
	v_and_b32_e32 v214, 16, v214
	v_and_b32_e32 v218, 0x100000, v218
	v_or3_b32 v253, v218, v253, v214
	v_lshrrev_b32_e32 v214, 4, v219
	v_lshlrev_b32_e32 v218, 18, v254
	v_lshlrev_b32_e32 v219, 25, v254
	v_and_b32_e32 v214, 0xf0f0f0f, v214
	v_and_b32_e32 v218, 0x100000, v218
	v_and_b32_e32 v219, 0x10000000, v219
	v_or3_b32 v255, v219, v214, v218
	v_lshlrev_b32_e32 v214, 4, v123
	v_lshlrev_b32_e32 v218, 18, v123
	;; [unrolled: 1-line block ×3, first 2 shown]
	v_and_b32_e32 v214, 16, v214
	v_and_b32_e32 v218, 0x100000, v218
	v_and_b32_e32 v219, 0x10000000, v219
	v_or3_b32 v125, v218, v219, v214
	v_lshlrev_b32_e32 v214, 18, v124
	v_lshlrev_b32_e32 v218, 25, v124
	s_waitcnt vmcnt(1)
	v_and_b32_e32 v219, 0xf0f0f0f, v249
	v_and_b32_e32 v214, 0x100000, v214
	;; [unrolled: 1-line block ×3, first 2 shown]
	v_or3_b32 v126, v218, v219, v214
	v_lshlrev_b32_e32 v214, 4, v130
	v_lshlrev_b32_e32 v218, 18, v130
	;; [unrolled: 1-line block ×3, first 2 shown]
	v_and_b32_e32 v214, 16, v214
	v_and_b32_e32 v218, 0x100000, v218
	;; [unrolled: 1-line block ×3, first 2 shown]
	v_or3_b32 v151, v218, v219, v214
	v_lshrrev_b32_e32 v214, 4, v249
	v_ashrrev_i32_e32 v249, v150, v121
	v_ashrrev_i32_e32 v121, v165, v121
	v_and_b32_e32 v214, 0xf0f0f0f, v214
	v_lshlrev_b32_e32 v218, 18, v249
	v_lshlrev_b32_e32 v219, 25, v249
	v_and_b32_e32 v218, 0x100000, v218
	v_and_b32_e32 v219, 0x10000000, v219
	v_or3_b32 v1, v219, v214, v218
	v_lshlrev_b32_e32 v214, 4, v121
	v_lshlrev_b32_e32 v218, 18, v121
	;; [unrolled: 1-line block ×3, first 2 shown]
	v_and_b32_e32 v214, 16, v214
	v_and_b32_e32 v218, 0x100000, v218
	;; [unrolled: 1-line block ×3, first 2 shown]
	v_or3_b32 v0, v218, v219, v214
	v_lshlrev_b32_e32 v214, 4, v196
	v_lshlrev_b32_e32 v196, 11, v196
	v_and_b32_e32 v214, 16, v214
	v_and_b32_e32 v196, 0x1000, v196
	v_or3_b32 v218, v209, v214, v196
	v_lshlrev_b32_e32 v196, 11, v211
	v_and_b32_e32 v196, 0x1000, v196
	v_or3_b32 v214, v212, v196, v206
	v_lshlrev_b32_e32 v196, 4, v213
	v_lshlrev_b32_e32 v206, 11, v213
	v_and_b32_e32 v196, 16, v196
	v_and_b32_e32 v206, 0x1000, v206
	v_or3_b32 v213, v215, v196, v206
	s_clause 0x7
	global_load_dword v196, v[216:217], off offset:8
	global_load_dword v206, v[230:231], off offset:32
	;; [unrolled: 1-line block ×8, first 2 shown]
	s_waitcnt vmcnt(7)
	v_lshrrev_b32_e32 v196, 4, v196
	v_and_b32_e32 v196, 0xf0f0f0f, v196
	v_or3_b32 v219, v198, v43, v196
	v_lshlrev_b32_e32 v43, 4, v197
	v_lshlrev_b32_e32 v196, 11, v197
	v_and_b32_e32 v43, 16, v43
	v_and_b32_e32 v196, 0x1000, v196
	v_or3_b32 v215, v199, v43, v196
	global_load_dword v196, v[44:45], off offset:40
	v_lshlrev_b32_e32 v43, 11, v200
	v_and_b32_e32 v43, 0x1000, v43
	s_waitcnt vmcnt(0)
	v_and_b32_e32 v196, 0xf0f0f0f, v196
	v_or3_b32 v217, v201, v43, v196
	v_lshlrev_b32_e32 v43, 4, v202
	v_lshlrev_b32_e32 v196, 11, v202
	v_and_b32_e32 v43, 16, v43
	v_and_b32_e32 v196, 0x1000, v196
	v_or3_b32 v216, v203, v43, v196
	v_lshrrev_b32_e32 v43, 4, v206
	v_mov_b32_e32 v196, 0
	v_and_b32_e32 v43, 0xf0f0f0f, v43
	v_or3_b32 v212, v205, v37, v43
	v_lshlrev_b32_e32 v37, 4, v204
	v_lshlrev_b32_e32 v43, 11, v204
	v_dot4c_i32_i8 v196, v212, v55
	v_and_b32_e32 v37, 16, v37
	v_and_b32_e32 v43, 0x1000, v43
	v_cvt_f32_i32_e32 v196, v196
	v_or3_b32 v209, v207, v37, v43
	global_load_dword v43, v[44:45], off offset:64
	v_lshlrev_b32_e32 v37, 11, v208
	v_and_b32_e32 v37, 0x1000, v37
	s_waitcnt vmcnt(0)
	v_and_b32_e32 v43, 0xf0f0f0f, v43
	v_or3_b32 v210, v210, v37, v43
	v_lshlrev_b32_e32 v37, 4, v220
	v_lshlrev_b32_e32 v43, 11, v220
	v_cvt_f32_f16_e32 v220, v42
	v_cvt_f32_f16_sdwa v42, v42 dst_sel:DWORD dst_unused:UNUSED_PAD src0_sel:WORD_1
	v_and_b32_e32 v37, 16, v37
	v_and_b32_e32 v43, 0x1000, v43
	v_or3_b32 v211, v221, v37, v43
	v_lshrrev_b32_e32 v37, 4, v230
	v_cvt_f32_f16_e32 v221, v36
	v_cvt_f32_f16_sdwa v36, v36 dst_sel:DWORD dst_unused:UNUSED_PAD src0_sel:WORD_1
	v_and_b32_e32 v37, 0xf0f0f0f, v37
	v_mul_f32_e32 v200, v5, v36
	v_or3_b32 v208, v223, v39, v37
	v_lshlrev_b32_e32 v37, 4, v222
	v_lshlrev_b32_e32 v39, 11, v222
	v_mul_f32_e32 v200, 0x3e000000, v200
	v_mul_f32_e32 v222, v4, v221
	v_cvt_f32_f16_sdwa v223, v38 dst_sel:DWORD dst_unused:UNUSED_PAD src0_sel:WORD_1
	v_and_b32_e32 v37, 16, v37
	v_and_b32_e32 v39, 0x1000, v39
	v_or3_b32 v206, v224, v37, v39
	global_load_dword v39, v[44:45], off offset:88
	v_lshlrev_b32_e32 v37, 11, v225
	v_mov_b32_e32 v224, 0
	v_mov_b32_e32 v225, 0
	v_and_b32_e32 v37, 0x1000, v37
	v_dot4c_i32_i8 v224, v211, v58
	v_dot4c_i32_i8 v225, v208, v59
	v_cvt_f32_i32_e32 v224, v224
	v_cvt_f32_i32_e32 v225, v225
	s_waitcnt vmcnt(0)
	v_and_b32_e32 v39, 0xf0f0f0f, v39
	v_or3_b32 v207, v226, v37, v39
	v_lshlrev_b32_e32 v37, 4, v227
	v_lshlrev_b32_e32 v39, 11, v227
	v_mul_f32_e32 v226, v7, v223
	v_mov_b32_e32 v227, 0
	v_and_b32_e32 v37, 16, v37
	v_and_b32_e32 v39, 0x1000, v39
	v_or3_b32 v205, v228, v37, v39
	v_lshrrev_b32_e32 v37, 4, v231
	v_lshlrev_b32_e32 v39, 11, v41
	v_and_b32_e32 v41, 0xf0f0f0f, v245
	v_mul_f32_e32 v228, 0x3e000000, v226
	v_and_b32_e32 v37, 0xf0f0f0f, v37
	v_and_b32_e32 v39, 0x1000, v39
	v_or3_b32 v204, v229, v39, v37
	v_lshlrev_b32_e32 v37, 4, v244
	v_lshlrev_b32_e32 v39, 11, v244
	v_dot4c_i32_i8 v227, v204, v63
	v_and_b32_e32 v37, 16, v37
	v_and_b32_e32 v39, 0x1000, v39
	v_cvt_f32_i32_e32 v227, v227
	v_or3_b32 v201, v251, v37, v39
	v_lshlrev_b32_e32 v37, 11, v252
	v_and_b32_e32 v39, 0xf0f0f0f, v250
	v_mov_b32_e32 v250, 0
	v_and_b32_e32 v37, 0x1000, v37
	v_or3_b32 v202, v253, v37, v39
	v_lshlrev_b32_e32 v37, 4, v254
	v_lshlrev_b32_e32 v39, 11, v254
	v_and_b32_e32 v37, 16, v37
	v_and_b32_e32 v39, 0x1000, v39
	v_or3_b32 v203, v255, v37, v39
	v_lshrrev_b32_e32 v37, 4, v232
	v_lshlrev_b32_e32 v39, 11, v123
	v_and_b32_e32 v123, 0xf0f0f0f, v247
	v_and_b32_e32 v37, 0xf0f0f0f, v37
	v_and_b32_e32 v39, 0x1000, v39
	v_or3_b32 v199, v125, v39, v37
	v_lshlrev_b32_e32 v37, 4, v124
	v_lshlrev_b32_e32 v39, 11, v124
	v_and_b32_e32 v37, 16, v37
	v_and_b32_e32 v39, 0x1000, v39
	v_or3_b32 v197, v126, v37, v39
	global_load_dword v37, v[44:45], off offset:136
	v_lshlrev_b32_e32 v39, 11, v130
	v_mul_f32_e32 v126, v3, v42
	v_mul_f32_e32 v130, v2, v220
	v_and_b32_e32 v39, 0x1000, v39
	v_mul_f32_e32 v126, 0x3e000000, v126
	s_waitcnt vmcnt(0)
	v_and_b32_e32 v37, 0xf0f0f0f, v37
	v_or3_b32 v45, v151, v39, v37
	v_lshlrev_b32_e32 v37, 4, v249
	v_lshlrev_b32_e32 v39, 11, v249
	v_mov_b32_e32 v151, 0
	v_mov_b32_e32 v249, 0
	v_and_b32_e32 v37, 16, v37
	v_and_b32_e32 v39, 0x1000, v39
	v_dot4c_i32_i8 v151, v216, v54
	v_or3_b32 v43, v1, v37, v39
	v_lshrrev_b32_e32 v1, 4, v233
	v_lshlrev_b32_e32 v37, 11, v121
	v_cvt_f32_i32_e32 v151, v151
	v_and_b32_e32 v1, 0xf0f0f0f, v1
	v_and_b32_e32 v37, 0x1000, v37
	v_fma_f32 v151, v222, v151, v200
	v_or3_b32 v37, v0, v37, v1
	v_ashrrev_i32_e32 v0, v131, v119
	v_lshlrev_b32_e32 v1, 18, v0
	v_lshlrev_b32_e32 v39, 25, v0
	v_and_b32_e32 v1, 0x100000, v1
	v_and_b32_e32 v39, 0x10000000, v39
	v_or3_b32 v1, v39, v41, v1
	v_lshlrev_b32_e32 v39, 4, v0
	v_lshlrev_b32_e32 v0, 11, v0
	v_and_b32_e32 v39, 16, v39
	v_and_b32_e32 v0, 0x1000, v0
	v_or3_b32 v39, v1, v39, v0
	v_ashrrev_i32_e32 v0, v148, v119
	v_lshlrev_b32_e32 v1, 4, v0
	v_lshlrev_b32_e32 v41, 18, v0
	;; [unrolled: 1-line block ×4, first 2 shown]
	v_and_b32_e32 v1, 16, v1
	v_and_b32_e32 v41, 0x100000, v41
	;; [unrolled: 1-line block ×4, first 2 shown]
	v_or3_b32 v1, v41, v44, v1
	v_and_b32_e32 v41, 0xf0f0f0f, v246
	v_or3_b32 v41, v1, v0, v41
	v_ashrrev_i32_e32 v1, v150, v119
	v_lshrrev_b32_e32 v0, 4, v245
	v_mov_b32_e32 v245, 0
	v_lshlrev_b32_e32 v44, 18, v1
	v_lshlrev_b32_e32 v121, 25, v1
	v_and_b32_e32 v0, 0xf0f0f0f, v0
	v_and_b32_e32 v44, 0x100000, v44
	v_and_b32_e32 v121, 0x10000000, v121
	v_or3_b32 v0, v121, v0, v44
	v_lshlrev_b32_e32 v44, 4, v1
	v_lshlrev_b32_e32 v1, 11, v1
	v_and_b32_e32 v44, 16, v44
	v_and_b32_e32 v1, 0x1000, v1
	v_or3_b32 v44, v0, v44, v1
	v_ashrrev_i32_e32 v0, v168, v119
	v_lshlrev_b32_e32 v1, 4, v0
	v_lshlrev_b32_e32 v119, 18, v0
	v_lshlrev_b32_e32 v121, 25, v0
	v_lshlrev_b32_e32 v0, 11, v0
	v_and_b32_e32 v1, 16, v1
	v_and_b32_e32 v119, 0x100000, v119
	;; [unrolled: 1-line block ×4, first 2 shown]
	v_or3_b32 v1, v119, v121, v1
	v_lshrrev_b32_e32 v119, 4, v234
	v_and_b32_e32 v119, 0xf0f0f0f, v119
	v_or3_b32 v119, v1, v0, v119
	v_ashrrev_i32_e32 v0, v131, v117
	v_dot4c_i32_i8 v245, v119, v75
	v_lshlrev_b32_e32 v1, 18, v0
	v_lshlrev_b32_e32 v121, 25, v0
	v_cvt_f32_i32_e32 v245, v245
	v_and_b32_e32 v1, 0x100000, v1
	v_and_b32_e32 v121, 0x10000000, v121
	v_or3_b32 v1, v121, v123, v1
	v_lshlrev_b32_e32 v121, 4, v0
	v_lshlrev_b32_e32 v0, 11, v0
	v_and_b32_e32 v121, 16, v121
	v_and_b32_e32 v0, 0x1000, v0
	v_or3_b32 v121, v1, v121, v0
	v_ashrrev_i32_e32 v0, v148, v117
	v_lshlrev_b32_e32 v1, 4, v0
	v_lshlrev_b32_e32 v123, 18, v0
	;; [unrolled: 1-line block ×4, first 2 shown]
	v_and_b32_e32 v1, 16, v1
	v_and_b32_e32 v123, 0x100000, v123
	v_and_b32_e32 v124, 0x10000000, v124
	v_and_b32_e32 v0, 0x1000, v0
	v_or3_b32 v1, v123, v124, v1
	v_and_b32_e32 v123, 0xf0f0f0f, v248
	v_or3_b32 v123, v1, v0, v123
	v_ashrrev_i32_e32 v1, v150, v117
	v_lshrrev_b32_e32 v0, 4, v247
	v_lshlrev_b32_e32 v124, 18, v1
	v_lshlrev_b32_e32 v125, 25, v1
	v_and_b32_e32 v0, 0xf0f0f0f, v0
	v_and_b32_e32 v124, 0x100000, v124
	;; [unrolled: 1-line block ×3, first 2 shown]
	v_or3_b32 v0, v125, v0, v124
	v_lshlrev_b32_e32 v124, 4, v1
	v_lshlrev_b32_e32 v1, 11, v1
	v_mov_b32_e32 v125, 0
	v_and_b32_e32 v124, 16, v124
	v_and_b32_e32 v1, 0x1000, v1
	v_dot4c_i32_i8 v125, v219, v51
	v_or3_b32 v198, v0, v124, v1
	v_ashrrev_i32_e32 v0, v171, v117
	v_cvt_f32_i32_e32 v125, v125
	v_dot4c_i32_i8 v249, v198, v78
	v_lshlrev_b32_e32 v1, 4, v0
	v_lshlrev_b32_e32 v117, 18, v0
	;; [unrolled: 1-line block ×4, first 2 shown]
	v_cvt_f32_i32_e32 v249, v249
	v_and_b32_e32 v1, 16, v1
	v_and_b32_e32 v117, 0x100000, v117
	;; [unrolled: 1-line block ×4, first 2 shown]
	v_or3_b32 v1, v117, v124, v1
	v_lshrrev_b32_e32 v117, 4, v235
	v_mov_b32_e32 v124, 0
	v_and_b32_e32 v117, 0xf0f0f0f, v117
	v_dot4c_i32_i8 v124, v213, v50
	v_or3_b32 v117, v1, v0, v117
	v_mov_b32_e32 v0, 0
	v_mov_b32_e32 v1, 0
	v_cvt_f32_i32_e32 v124, v124
	v_dot4c_i32_i8 v250, v117, v79
	v_dot4c_i32_i8 v0, v218, v48
	;; [unrolled: 1-line block ×3, first 2 shown]
	v_fma_f32 v124, v130, v124, v126
	v_cvt_f32_i32_e32 v250, v250
	v_cvt_f32_i32_e32 v0, v0
	;; [unrolled: 1-line block ×3, first 2 shown]
	v_fma_f32 v0, v130, v0, v126
	v_fma_f32 v1, v130, v1, v126
	v_fmac_f32_e32 v126, v130, v125
	v_mov_b32_e32 v125, 0
	v_mov_b32_e32 v130, 0
	v_add_f32_e32 v0, 0, v0
	v_dot4c_i32_i8 v125, v215, v52
	v_dot4c_i32_i8 v130, v217, v53
	v_add_f32_e32 v0, v0, v1
	v_cvt_f32_i32_e32 v125, v125
	v_cvt_f32_i32_e32 v130, v130
	v_add_f32_e32 v0, v124, v0
	v_fma_f32 v125, v222, v125, v200
	v_fma_f32 v130, v222, v130, v200
	v_add_f32_e32 v0, v0, v126
	v_fmac_f32_e32 v200, v222, v196
	v_cvt_f32_f16_e32 v222, v38
	v_mov_b32_e32 v38, 0
	v_mov_b32_e32 v196, 0
	v_add_f32_e32 v0, v0, v125
	v_mul_f32_e32 v226, v6, v222
	v_dot4c_i32_i8 v38, v209, v56
	v_dot4c_i32_i8 v196, v210, v57
	v_add_f32_e32 v0, v0, v130
	v_fma_f32 v230, v226, v224, v228
	v_cvt_f32_i32_e32 v38, v38
	v_cvt_f32_i32_e32 v196, v196
	v_add_f32_e32 v0, v151, v0
	v_cvt_f32_f16_e32 v224, v40
	v_fma_f32 v229, v226, v38, v228
	v_fma_f32 v196, v226, v196, v228
	v_add_f32_e32 v0, v0, v200
	v_fmac_f32_e32 v228, v226, v225
	v_cvt_f32_f16_sdwa v225, v40 dst_sel:DWORD dst_unused:UNUSED_PAD src0_sel:WORD_1
	v_mov_b32_e32 v38, 0
	v_mov_b32_e32 v40, 0
	v_add_f32_e32 v0, v0, v229
	v_mov_b32_e32 v226, 0
	v_mul_f32_e32 v231, v9, v225
	v_dot4c_i32_i8 v38, v206, v60
	v_dot4c_i32_i8 v40, v207, v61
	v_add_f32_e32 v0, v0, v196
	v_mul_f32_e32 v232, v8, v224
	v_mul_f32_e32 v231, 0x3e000000, v231
	v_cvt_f32_i32_e32 v38, v38
	v_dot4c_i32_i8 v226, v205, v62
	v_add_f32_e32 v0, v230, v0
	v_cvt_f32_i32_e32 v40, v40
                                        ; implicit-def: $vgpr200
	v_fma_f32 v233, v232, v38, v231
	v_cvt_f32_i32_e32 v226, v226
	v_add_f32_e32 v0, v0, v228
	v_fma_f32 v234, v232, v40, v231
	v_cvt_f32_f16_e32 v38, v122
	v_cvt_f32_f16_sdwa v40, v122 dst_sel:DWORD dst_unused:UNUSED_PAD src0_sel:WORD_1
	v_mov_b32_e32 v122, 0
	v_add_f32_e32 v0, v0, v233
	v_fma_f32 v235, v232, v226, v231
	v_mov_b32_e32 v226, 0
	v_mul_f32_e32 v236, v11, v40
	v_dot4c_i32_i8 v122, v201, v64
	v_add_f32_e32 v0, v0, v234
	v_fmac_f32_e32 v231, v232, v227
	v_dot4c_i32_i8 v226, v202, v65
	v_mov_b32_e32 v227, 0
	v_cvt_f32_i32_e32 v122, v122
	v_mul_f32_e32 v236, 0x3e000000, v236
	v_mul_f32_e32 v237, v10, v38
	v_add_f32_e32 v0, v235, v0
	v_dot4c_i32_i8 v227, v203, v66
	v_mov_b32_e32 v232, 0
	v_cvt_f32_i32_e32 v226, v226
	v_fma_f32 v238, v237, v122, v236
	v_add_f32_e32 v0, v0, v231
	v_cvt_f32_i32_e32 v227, v227
	v_dot4c_i32_i8 v232, v199, v67
	v_fma_f32 v239, v237, v226, v236
	v_cvt_f32_f16_e32 v122, v120
	v_cvt_f32_f16_sdwa v120, v120 dst_sel:DWORD dst_unused:UNUSED_PAD src0_sel:WORD_1
	v_mov_b32_e32 v226, 0
	v_add_f32_e32 v0, v0, v238
	v_cvt_f32_i32_e32 v232, v232
	v_fma_f32 v240, v237, v227, v236
	v_mov_b32_e32 v227, 0
	v_dot4c_i32_i8 v226, v197, v68
	v_mul_f32_e32 v241, v13, v120
	v_add_f32_e32 v0, v0, v239
	v_fmac_f32_e32 v236, v237, v232
	v_dot4c_i32_i8 v227, v45, v69
	v_cvt_f32_i32_e32 v226, v226
	v_mov_b32_e32 v232, 0
	v_mov_b32_e32 v237, 0
	v_mul_f32_e32 v241, 0x3e000000, v241
	v_mul_f32_e32 v242, v12, v122
	v_add_f32_e32 v0, v240, v0
	v_dot4c_i32_i8 v232, v43, v70
	v_dot4c_i32_i8 v237, v37, v71
	v_cvt_f32_i32_e32 v227, v227
	v_fma_f32 v243, v242, v226, v241
	v_add_f32_e32 v0, v0, v236
	v_cvt_f32_i32_e32 v232, v232
	v_cvt_f32_i32_e32 v237, v237
	v_fma_f32 v244, v242, v227, v241
	v_cvt_f32_f16_e32 v226, v118
	v_cvt_f32_f16_sdwa v118, v118 dst_sel:DWORD dst_unused:UNUSED_PAD src0_sel:WORD_1
	v_mov_b32_e32 v227, 0
	v_add_f32_e32 v0, v0, v243
	v_fma_f32 v232, v242, v232, v241
	v_fmac_f32_e32 v241, v242, v237
	v_mov_b32_e32 v237, 0
	v_dot4c_i32_i8 v227, v39, v72
	v_mov_b32_e32 v242, 0
	v_mul_f32_e32 v246, v15, v118
	v_add_f32_e32 v0, v0, v244
	v_dot4c_i32_i8 v237, v41, v73
	v_cvt_f32_i32_e32 v227, v227
	v_dot4c_i32_i8 v242, v44, v74
	v_mul_f32_e32 v246, 0x3e000000, v246
	v_mul_f32_e32 v247, v14, v226
	v_add_f32_e32 v0, v232, v0
	v_cvt_f32_i32_e32 v237, v237
	v_cvt_f32_i32_e32 v242, v242
	v_fma_f32 v248, v247, v227, v246
	v_add_f32_e32 v0, v0, v241
	v_fma_f32 v237, v247, v237, v246
	v_fma_f32 v242, v247, v242, v246
	v_fmac_f32_e32 v246, v247, v245
	v_cvt_f32_f16_e32 v227, v116
	v_cvt_f32_f16_sdwa v116, v116 dst_sel:DWORD dst_unused:UNUSED_PAD src0_sel:WORD_1
	v_mov_b32_e32 v245, 0
	v_add_f32_e32 v0, v0, v248
	v_mov_b32_e32 v247, 0
	v_mul_f32_e32 v252, v16, v227
	v_mul_f32_e32 v251, v17, v116
	v_dot4c_i32_i8 v245, v121, v76
	v_add_f32_e32 v0, v0, v237
	v_dot4c_i32_i8 v247, v123, v77
	v_mul_f32_e32 v251, 0x3e000000, v251
	v_cvt_f32_i32_e32 v245, v245
	v_add_f32_e32 v0, v242, v0
	v_cvt_f32_i32_e32 v247, v247
	v_fma_f32 v249, v252, v249, v251
	v_fma_f32 v245, v252, v245, v251
	v_add_f32_e32 v0, v0, v246
	v_fma_f32 v247, v252, v247, v251
	v_fmac_f32_e32 v251, v252, v250
	v_add_f32_e32 v0, v0, v245
	v_add_f32_e32 v0, v0, v247
	;; [unrolled: 1-line block ×4, first 2 shown]
	ds_bpermute_b32 v1, v174, v0
	s_waitcnt lgkmcnt(0)
	v_add_f32_e32 v196, v0, v1
	v_cmp_ngt_f32_e64 s13, 0x3f200000, |v196|
	s_and_saveexec_b32 s19, s13
	s_xor_b32 s13, exec_lo, s19
	s_cbranch_execz .LBB31_24
; %bb.23:                               ;   in Loop: Header=BB31_22 Depth=1
	v_add_f32_e64 v0, |v196|, |v196|
	v_mul_f32_e32 v1, 0x3fb8aa3b, v0
	v_cmp_ngt_f32_e32 vcc_lo, 0xc2ce8ed0, v0
	v_rndne_f32_e32 v124, v1
	v_fma_f32 v125, 0x3fb8aa3b, v0, -v1
	v_sub_f32_e32 v1, v1, v124
	v_fmac_f32_e32 v125, 0x32a5705f, v0
	v_cvt_i32_f32_e32 v124, v124
	v_add_f32_e32 v1, v1, v125
	v_exp_f32_e32 v1, v1
	v_ldexp_f32 v1, v1, v124
	v_cndmask_b32_e32 v1, 0, v1, vcc_lo
	v_cmp_nlt_f32_e32 vcc_lo, 0x42b17218, v0
	v_cndmask_b32_e32 v0, 0x7f800000, v1, vcc_lo
	v_add_f32_e32 v0, 1.0, v0
	v_rcp_f32_e32 v0, v0
	v_fma_f32 v200, v0, -2.0, 1.0
.LBB31_24:                              ;   in Loop: Header=BB31_22 Depth=1
	s_andn2_saveexec_b32 s13, s13
	s_cbranch_execz .LBB31_26
; %bb.25:                               ;   in Loop: Header=BB31_22 Depth=1
	v_mul_f32_e32 v0, v196, v196
	v_fmaak_f32 v1, s12, v0, 0x3ca908c9
	v_fmaak_f32 v1, v0, v1, 0xbd5c1c4e
	v_fmaak_f32 v1, v0, v1, 0x3e088382
	v_fmaak_f32 v1, v0, v1, 0xbeaaaa99
	v_mul_f32_e64 v1, |v196|, v1
	v_fma_f32 v200, v0, v1, |v196|
.LBB31_26:                              ;   in Loop: Header=BB31_22 Depth=1
	s_or_b32 exec_lo, exec_lo, s13
	v_bfi_b32 v0, 0x7fffffff, v200, v196
	v_lshlrev_b32_e32 v196, 1, v146
	s_andn2_b32 vcc_lo, exec_lo, s18
	v_mul_f32_e32 v200, s41, v0
	s_cbranch_vccnz .LBB31_28
; %bb.27:                               ;   in Loop: Header=BB31_22 Depth=1
	global_load_ushort v0, v196, s[4:5]
	s_waitcnt vmcnt(0)
	v_fma_mix_f32 v200, v127, v0, v200 op_sel_hi:[0,1,0]
.LBB31_28:                              ;   in Loop: Header=BB31_22 Depth=1
	v_mov_b32_e32 v0, 0
	v_mov_b32_e32 v1, 0
	;; [unrolled: 1-line block ×4, first 2 shown]
	v_mul_f32_e32 v42, v19, v42
	v_dot4c_i32_i8 v0, v218, v80
	v_dot4c_i32_i8 v1, v214, v81
	;; [unrolled: 1-line block ×4, first 2 shown]
	v_mul_f32_e32 v126, v18, v220
	v_mul_f32_e32 v42, 0x3e000000, v42
	v_cvt_f32_i32_e32 v0, v0
	v_cvt_f32_i32_e32 v1, v1
	v_cvt_f32_i32_e32 v124, v124
	v_cvt_f32_i32_e32 v125, v125
	v_mov_b32_e32 v130, 0
	v_fma_f32 v0, v126, v0, v42
	v_fma_f32 v1, v126, v1, v42
	;; [unrolled: 1-line block ×3, first 2 shown]
	v_fmac_f32_e32 v42, v126, v125
	v_mov_b32_e32 v125, 0
	v_mov_b32_e32 v126, 0
	;; [unrolled: 1-line block ×3, first 2 shown]
	v_dot4c_i32_i8 v130, v216, v86
	v_mul_f32_e32 v36, v21, v36
	v_dot4c_i32_i8 v125, v215, v84
	v_dot4c_i32_i8 v126, v217, v85
	;; [unrolled: 1-line block ×3, first 2 shown]
	v_mul_f32_e32 v212, v20, v221
	v_mul_f32_e32 v36, 0x3e000000, v36
	v_cvt_f32_i32_e32 v125, v125
	v_cvt_f32_i32_e32 v126, v126
	;; [unrolled: 1-line block ×4, first 2 shown]
	v_add_f32_e32 v0, 0, v0
	v_fma_f32 v125, v212, v125, v36
	v_fma_f32 v126, v212, v126, v36
	;; [unrolled: 1-line block ×3, first 2 shown]
	v_fmac_f32_e32 v36, v212, v151
	v_mov_b32_e32 v151, 0
	v_add_f32_e32 v0, v0, v1
	v_mul_f32_e32 v212, v22, v222
	v_mov_b32_e32 v1, 0
	v_mul_f32_e32 v40, v27, v40
	v_dot4c_i32_i8 v151, v209, v88
	v_mov_b32_e32 v209, 0
	v_add_f32_e32 v0, v124, v0
	v_dot4c_i32_i8 v1, v201, v96
	v_mul_f32_e32 v38, v26, v38
	v_cvt_f32_i32_e32 v151, v151
	v_dot4c_i32_i8 v209, v210, v89
	v_mov_b32_e32 v210, 0
	v_add_f32_e32 v0, v0, v42
	v_mov_b32_e32 v42, 0
	v_cvt_f32_i32_e32 v1, v1
	v_cvt_f32_i32_e32 v209, v209
	v_dot4c_i32_i8 v210, v211, v90
	v_mov_b32_e32 v211, 0
	v_add_f32_e32 v0, v0, v125
	v_mul_f32_e32 v40, 0x3e000000, v40
	v_mov_b32_e32 v124, 0
	v_cvt_f32_i32_e32 v210, v210
	v_dot4c_i32_i8 v211, v208, v91
	v_mul_f32_e32 v208, v23, v223
	v_add_f32_e32 v0, v0, v126
	v_dot4c_i32_i8 v42, v203, v98
	v_fma_f32 v1, v38, v1, v40
	v_cvt_f32_i32_e32 v211, v211
	v_mul_f32_e32 v208, 0x3e000000, v208
	v_add_f32_e32 v0, v130, v0
	v_dot4c_i32_i8 v124, v199, v99
	v_cvt_f32_i32_e32 v42, v42
	v_fma_f32 v151, v212, v151, v208
	v_fma_f32 v209, v212, v209, v208
	;; [unrolled: 1-line block ×3, first 2 shown]
	v_fmac_f32_e32 v208, v212, v211
	v_mov_b32_e32 v211, 0
	v_add_f32_e32 v0, v0, v36
	v_mul_f32_e32 v212, v24, v224
	v_mov_b32_e32 v36, 0
	v_fma_f32 v42, v38, v42, v40
	v_dot4c_i32_i8 v211, v206, v92
	v_mov_b32_e32 v206, 0
	v_add_f32_e32 v0, v0, v151
	v_dot4c_i32_i8 v36, v202, v97
	v_cvt_f32_i32_e32 v211, v211
	v_dot4c_i32_i8 v206, v207, v93
	v_mov_b32_e32 v207, 0
	v_add_f32_e32 v0, v0, v209
	v_cvt_f32_i32_e32 v36, v36
	v_cvt_f32_i32_e32 v206, v206
	v_dot4c_i32_i8 v207, v205, v94
	v_mov_b32_e32 v205, 0
	v_add_f32_e32 v0, v210, v0
	v_fma_f32 v36, v38, v36, v40
	v_cvt_f32_i32_e32 v207, v207
	v_dot4c_i32_i8 v205, v204, v95
	v_mul_f32_e32 v204, v25, v225
	v_add_f32_e32 v0, v0, v208
	v_cvt_f32_i32_e32 v205, v205
	v_mul_f32_e32 v204, 0x3e000000, v204
	v_fma_f32 v211, v212, v211, v204
	v_fma_f32 v206, v212, v206, v204
	;; [unrolled: 1-line block ×3, first 2 shown]
	v_fmac_f32_e32 v204, v212, v205
	v_add_f32_e32 v0, v0, v211
	v_add_f32_e32 v0, v0, v206
	v_add_f32_e32 v0, v207, v0
	v_add_f32_e32 v0, v0, v204
	v_add_f32_e32 v0, v0, v1
	v_cvt_f32_i32_e32 v1, v124
	v_mov_b32_e32 v124, 0
	v_add_f32_e32 v0, v0, v36
	v_fmac_f32_e32 v40, v38, v1
	v_dot4c_i32_i8 v124, v197, v100
	v_mul_f32_e32 v1, v29, v120
	v_mov_b32_e32 v36, 0
	v_add_f32_e32 v0, v42, v0
	v_mul_f32_e32 v38, v28, v122
	v_cvt_f32_i32_e32 v42, v124
	v_mul_f32_e32 v1, 0x3e000000, v1
	v_dot4c_i32_i8 v36, v45, v101
	v_mov_b32_e32 v45, 0
	v_add_f32_e32 v0, v0, v40
	v_fma_f32 v40, v38, v42, v1
	v_cvt_f32_i32_e32 v36, v36
	v_dot4c_i32_i8 v45, v43, v102
	v_add_f32_e32 v0, v0, v40
	v_fma_f32 v36, v38, v36, v1
	v_mov_b32_e32 v40, 0
	v_cvt_f32_i32_e32 v42, v45
	v_add_f32_e32 v0, v0, v36
	v_dot4c_i32_i8 v40, v37, v103
	v_fma_f32 v36, v38, v42, v1
	v_mov_b32_e32 v37, 0
	v_cvt_f32_i32_e32 v40, v40
	v_add_f32_e32 v0, v36, v0
	v_dot4c_i32_i8 v37, v39, v104
	v_mul_f32_e32 v36, v31, v118
	v_mov_b32_e32 v39, 0
	v_fmac_f32_e32 v1, v38, v40
	v_mul_f32_e32 v38, v30, v226
	v_cvt_f32_i32_e32 v37, v37
	v_mul_f32_e32 v36, 0x3e000000, v36
	v_dot4c_i32_i8 v39, v41, v105
	v_mov_b32_e32 v40, 0
	v_add_f32_e32 v0, v0, v1
	v_fma_f32 v1, v38, v37, v36
	v_cvt_f32_i32_e32 v37, v39
	v_dot4c_i32_i8 v40, v44, v106
	v_add_f32_e32 v0, v0, v1
	v_fma_f32 v1, v38, v37, v36
	v_mov_b32_e32 v37, 0
	v_cvt_f32_i32_e32 v39, v40
	v_mov_b32_e32 v40, 0
	v_add_f32_e32 v0, v0, v1
	v_dot4c_i32_i8 v37, v119, v107
	v_fma_f32 v1, v38, v39, v36
	v_mov_b32_e32 v39, 0
	v_dot4c_i32_i8 v40, v123, v109
	v_cvt_f32_i32_e32 v37, v37
	v_add_f32_e32 v0, v1, v0
	v_dot4c_i32_i8 v39, v121, v108
	v_mul_f32_e32 v1, v33, v116
	v_fmac_f32_e32 v36, v38, v37
	v_mul_f32_e32 v37, v32, v227
	v_cvt_f32_i32_e32 v38, v39
	v_mul_f32_e32 v1, 0x3e000000, v1
	v_mov_b32_e32 v39, 0
	v_add_f32_e32 v0, v0, v36
	v_fma_f32 v36, v37, v38, v1
	v_cvt_f32_i32_e32 v38, v40
	v_dot4c_i32_i8 v39, v198, v110
	v_mov_b32_e32 v40, 0
	v_add_f32_e32 v0, v0, v36
	v_fma_f32 v36, v37, v38, v1
	v_cvt_f32_i32_e32 v38, v39
	v_dot4c_i32_i8 v40, v117, v111
	v_add_f32_e32 v0, v0, v36
	v_fma_f32 v36, v37, v38, v1
	v_cvt_f32_i32_e32 v38, v40
	v_add_f32_e32 v0, v36, v0
	v_fmac_f32_e32 v1, v37, v38
                                        ; implicit-def: $vgpr37
	v_add_f32_e32 v0, v0, v1
	ds_bpermute_b32 v1, v174, v0
	s_waitcnt lgkmcnt(0)
	v_add_f32_e32 v36, v0, v1
	v_cmp_ngt_f32_e64 s13, 0x3f200000, |v36|
	s_and_saveexec_b32 s19, s13
	s_xor_b32 s13, exec_lo, s19
	s_cbranch_execz .LBB31_30
; %bb.29:                               ;   in Loop: Header=BB31_22 Depth=1
	v_add_f32_e64 v0, |v36|, |v36|
	v_mul_f32_e32 v1, 0x3fb8aa3b, v0
	v_cmp_ngt_f32_e32 vcc_lo, 0xc2ce8ed0, v0
	v_rndne_f32_e32 v37, v1
	v_fma_f32 v38, 0x3fb8aa3b, v0, -v1
	v_sub_f32_e32 v1, v1, v37
	v_fmac_f32_e32 v38, 0x32a5705f, v0
	v_cvt_i32_f32_e32 v37, v37
	v_add_f32_e32 v1, v1, v38
	v_exp_f32_e32 v1, v1
	v_ldexp_f32 v1, v1, v37
	v_cndmask_b32_e32 v1, 0, v1, vcc_lo
	v_cmp_nlt_f32_e32 vcc_lo, 0x42b17218, v0
	v_cndmask_b32_e32 v0, 0x7f800000, v1, vcc_lo
	v_add_f32_e32 v0, 1.0, v0
	v_rcp_f32_e32 v0, v0
	v_fma_f32 v37, v0, -2.0, 1.0
.LBB31_30:                              ;   in Loop: Header=BB31_22 Depth=1
	s_andn2_saveexec_b32 s13, s13
	s_cbranch_execz .LBB31_32
; %bb.31:                               ;   in Loop: Header=BB31_22 Depth=1
	v_mul_f32_e32 v0, v36, v36
	v_fmaak_f32 v1, s12, v0, 0x3ca908c9
	v_fmaak_f32 v1, v0, v1, 0xbd5c1c4e
	v_fmaak_f32 v1, v0, v1, 0x3e088382
	v_fmaak_f32 v1, v0, v1, 0xbeaaaa99
	v_mul_f32_e64 v1, |v36|, v1
	v_fma_f32 v37, v0, v1, |v36|
.LBB31_32:                              ;   in Loop: Header=BB31_22 Depth=1
	s_or_b32 exec_lo, exec_lo, s13
	v_bfi_b32 v0, 0x7fffffff, v37, v36
	s_andn2_b32 vcc_lo, exec_lo, s10
	v_mul_f32_e32 v201, s41, v0
	s_cbranch_vccnz .LBB31_34
; %bb.33:                               ;   in Loop: Header=BB31_22 Depth=1
	s_clause 0x1
	buffer_load_dword v0, off, s[56:59], 0 offset:4
	buffer_load_dword v1, off, s[56:59], 0 offset:8
	s_waitcnt vmcnt(1)
	v_add_co_u32 v36, vcc_lo, s4, v0
	s_waitcnt vmcnt(0)
	v_add_co_ci_u32_e64 v37, null, s5, v1, vcc_lo
	global_load_ushort v0, v[36:37], off
	s_waitcnt vmcnt(0)
	v_fma_mix_f32 v201, v127, v0, v201 op_sel_hi:[0,1,0]
.LBB31_34:                              ;   in Loop: Header=BB31_22 Depth=1
	v_ashrrev_i32_e32 v0, 31, v178
	v_add_co_u32 v116, vcc_lo, s14, v178
	v_mov_b32_e32 v115, v113
	v_mov_b32_e32 v114, v112
	v_add_co_ci_u32_e64 v117, null, s15, v0, vcc_lo
	v_add_co_u32 v44, vcc_lo, v116, v131
	global_load_dwordx2 v[42:43], v[116:117], off
	v_add_co_ci_u32_e64 v45, null, 0, v117, vcc_lo
	s_clause 0x2
	global_load_dwordx2 v[36:37], v[116:117], off offset:24
	global_load_dwordx2 v[38:39], v[116:117], off offset:48
	;; [unrolled: 1-line block ×3, first 2 shown]
	v_add_co_u32 v231, vcc_lo, v116, v113
	v_add_co_ci_u32_e64 v232, null, 0, v117, vcc_lo
	v_add_co_u32 v233, vcc_lo, v116, v153
	v_add_co_ci_u32_e64 v234, null, 0, v117, vcc_lo
	;; [unrolled: 2-line block ×8, first 2 shown]
	s_waitcnt vmcnt(3)
	v_ashrrev_i32_e32 v197, v131, v43
	v_ashrrev_i32_e32 v214, v148, v43
	;; [unrolled: 1-line block ×4, first 2 shown]
	s_waitcnt vmcnt(2)
	v_ashrrev_i32_e32 v198, v131, v37
	v_lshlrev_b32_e32 v0, 18, v197
	v_ashrrev_i32_e32 v203, v148, v37
	v_ashrrev_i32_e32 v205, v150, v37
	;; [unrolled: 1-line block ×3, first 2 shown]
	s_waitcnt vmcnt(1)
	v_ashrrev_i32_e32 v207, v131, v39
	v_and_b32_e32 v119, 0x100000, v0
	v_lshlrev_b32_e32 v0, 25, v197
	v_ashrrev_i32_e32 v211, v148, v39
	v_ashrrev_i32_e32 v221, v150, v39
	;; [unrolled: 1-line block ×3, first 2 shown]
	s_waitcnt vmcnt(0)
	v_ashrrev_i32_e32 v223, v131, v41
	v_and_b32_e32 v120, 0x10000000, v0
	s_clause 0x4
	global_load_dword v118, v[44:45], off offset:8
	global_load_dword v0, v[44:45], off offset:80
	;; [unrolled: 1-line block ×5, first 2 shown]
	v_ashrrev_i32_e32 v226, v148, v41
	v_ashrrev_i32_e32 v228, v150, v41
	;; [unrolled: 1-line block ×3, first 2 shown]
	v_lshlrev_b32_e32 v113, 4, v197
	v_lshlrev_b32_e32 v197, 11, v197
	v_and_b32_e32 v113, 16, v113
	v_and_b32_e32 v197, 0x1000, v197
	s_waitcnt vmcnt(4)
	v_and_b32_e32 v122, 0xf0f0f0f, v118
	v_lshrrev_b32_e32 v118, 4, v118
	v_or3_b32 v213, v120, v122, v119
	v_lshlrev_b32_e32 v119, 4, v214
	v_lshlrev_b32_e32 v120, 18, v214
	;; [unrolled: 1-line block ×3, first 2 shown]
	v_and_b32_e32 v118, 0xf0f0f0f, v118
	v_and_b32_e32 v119, 16, v119
	;; [unrolled: 1-line block ×4, first 2 shown]
	v_or3_b32 v215, v120, v122, v119
	v_lshlrev_b32_e32 v119, 18, v216
	v_lshlrev_b32_e32 v120, 25, v216
	v_and_b32_e32 v119, 0x100000, v119
	v_and_b32_e32 v120, 0x10000000, v120
	v_or3_b32 v217, v120, v118, v119
	v_lshlrev_b32_e32 v118, 4, v43
	v_lshlrev_b32_e32 v119, 18, v43
	;; [unrolled: 1-line block ×4, first 2 shown]
	v_and_b32_e32 v118, 16, v118
	v_and_b32_e32 v119, 0x100000, v119
	;; [unrolled: 1-line block ×4, first 2 shown]
	v_or3_b32 v199, v119, v120, v118
	v_lshlrev_b32_e32 v118, 18, v198
	v_lshlrev_b32_e32 v119, 25, v198
	s_waitcnt vmcnt(1)
	v_and_b32_e32 v120, 0xf0f0f0f, v121
	v_and_b32_e32 v118, 0x100000, v118
	v_and_b32_e32 v119, 0x10000000, v119
	v_or3_b32 v202, v119, v120, v118
	v_lshlrev_b32_e32 v118, 4, v203
	v_lshlrev_b32_e32 v119, 18, v203
	v_lshlrev_b32_e32 v120, 25, v203
	v_and_b32_e32 v118, 16, v118
	v_and_b32_e32 v119, 0x100000, v119
	;; [unrolled: 1-line block ×3, first 2 shown]
	v_or3_b32 v204, v119, v120, v118
	v_lshrrev_b32_e32 v118, 4, v121
	v_lshlrev_b32_e32 v119, 18, v205
	v_lshlrev_b32_e32 v120, 25, v205
	v_and_b32_e32 v118, 0xf0f0f0f, v118
	v_and_b32_e32 v119, 0x100000, v119
	v_and_b32_e32 v120, 0x10000000, v120
	v_or3_b32 v206, v120, v118, v119
	v_lshlrev_b32_e32 v118, 4, v37
	v_lshlrev_b32_e32 v119, 18, v37
	;; [unrolled: 1-line block ×4, first 2 shown]
	v_and_b32_e32 v118, 16, v118
	v_and_b32_e32 v119, 0x100000, v119
	;; [unrolled: 1-line block ×4, first 2 shown]
	v_or3_b32 v208, v119, v120, v118
	v_lshlrev_b32_e32 v118, 18, v207
	v_lshlrev_b32_e32 v119, 25, v207
	v_and_b32_e32 v120, 0xf0f0f0f, v1
	v_lshrrev_b32_e32 v1, 4, v1
	v_and_b32_e32 v118, 0x100000, v118
	v_and_b32_e32 v119, 0x10000000, v119
	;; [unrolled: 1-line block ×3, first 2 shown]
	v_or3_b32 v210, v119, v120, v118
	v_lshlrev_b32_e32 v118, 4, v211
	v_lshlrev_b32_e32 v119, 18, v211
	;; [unrolled: 1-line block ×3, first 2 shown]
	v_and_b32_e32 v118, 16, v118
	v_and_b32_e32 v119, 0x100000, v119
	;; [unrolled: 1-line block ×3, first 2 shown]
	v_or3_b32 v212, v119, v120, v118
	v_lshlrev_b32_e32 v118, 18, v221
	v_lshlrev_b32_e32 v119, 25, v221
	v_and_b32_e32 v118, 0x100000, v118
	v_and_b32_e32 v119, 0x10000000, v119
	v_or3_b32 v222, v119, v1, v118
	v_lshlrev_b32_e32 v1, 4, v39
	v_lshlrev_b32_e32 v118, 18, v39
	;; [unrolled: 1-line block ×4, first 2 shown]
	v_and_b32_e32 v1, 16, v1
	v_and_b32_e32 v118, 0x100000, v118
	;; [unrolled: 1-line block ×4, first 2 shown]
	v_or3_b32 v224, v118, v119, v1
	v_lshlrev_b32_e32 v1, 18, v223
	v_lshlrev_b32_e32 v118, 25, v223
	v_and_b32_e32 v119, 0xf0f0f0f, v0
	v_lshrrev_b32_e32 v0, 4, v0
	v_and_b32_e32 v1, 0x100000, v1
	v_and_b32_e32 v118, 0x10000000, v118
	;; [unrolled: 1-line block ×3, first 2 shown]
	v_or3_b32 v225, v118, v119, v1
	v_lshlrev_b32_e32 v1, 4, v226
	v_lshlrev_b32_e32 v118, 18, v226
	;; [unrolled: 1-line block ×3, first 2 shown]
	v_and_b32_e32 v1, 16, v1
	v_and_b32_e32 v118, 0x100000, v118
	;; [unrolled: 1-line block ×3, first 2 shown]
	v_or3_b32 v227, v118, v119, v1
	v_lshlrev_b32_e32 v1, 18, v228
	v_lshlrev_b32_e32 v118, 25, v228
	v_and_b32_e32 v1, 0x100000, v1
	v_and_b32_e32 v118, 0x10000000, v118
	v_or3_b32 v229, v118, v0, v1
	v_lshlrev_b32_e32 v0, 4, v41
	v_lshlrev_b32_e32 v1, 18, v41
	;; [unrolled: 1-line block ×3, first 2 shown]
	v_and_b32_e32 v0, 16, v0
	v_and_b32_e32 v1, 0x100000, v1
	;; [unrolled: 1-line block ×3, first 2 shown]
	v_or3_b32 v230, v1, v118, v0
	s_clause 0xa
	global_load_dwordx2 v[122:123], v[116:117], off offset:96
	global_load_dwordx2 v[120:121], v[116:117], off offset:120
	;; [unrolled: 1-line block ×4, first 2 shown]
	global_load_dword v125, v[44:45], off offset:104
	global_load_dword v126, v[44:45], off offset:152
	;; [unrolled: 1-line block ×7, first 2 shown]
	s_waitcnt vmcnt(6)
	v_and_b32_e32 v219, 0xf0f0f0f, v125
	v_lshrrev_b32_e32 v125, 4, v125
	v_ashrrev_i32_e32 v0, v131, v123
	v_ashrrev_i32_e32 v250, v150, v123
	;; [unrolled: 1-line block ×3, first 2 shown]
	s_waitcnt vmcnt(1)
	v_and_b32_e32 v253, 0xf0f0f0f, v218
	v_and_b32_e32 v125, 0xf0f0f0f, v125
	v_lshlrev_b32_e32 v1, 18, v0
	v_lshlrev_b32_e32 v124, 25, v0
	v_ashrrev_i32_e32 v254, v148, v121
	v_ashrrev_i32_e32 v189, v150, v121
	v_lshrrev_b32_e32 v218, 4, v218
	v_and_b32_e32 v1, 0x100000, v1
	v_and_b32_e32 v124, 0x10000000, v124
	v_lshlrev_b32_e32 v255, 25, v254
	v_ashrrev_i32_e32 v121, v165, v121
	v_and_b32_e32 v218, 0xf0f0f0f, v218
	v_or3_b32 v1, v124, v219, v1
	v_ashrrev_i32_e32 v124, v148, v123
	v_ashrrev_i32_e32 v123, v162, v123
	v_and_b32_e32 v255, 0x10000000, v255
	v_lshlrev_b32_e32 v219, 4, v124
	v_lshlrev_b32_e32 v220, 18, v124
	;; [unrolled: 1-line block ×4, first 2 shown]
	v_and_b32_e32 v219, 16, v219
	v_and_b32_e32 v220, 0x100000, v220
	;; [unrolled: 1-line block ×4, first 2 shown]
	v_or3_b32 v249, v220, v249, v219
	v_lshlrev_b32_e32 v219, 18, v250
	v_lshlrev_b32_e32 v220, 25, v250
	v_and_b32_e32 v219, 0x100000, v219
	v_and_b32_e32 v220, 0x10000000, v220
	v_or3_b32 v125, v220, v125, v219
	v_lshlrev_b32_e32 v219, 4, v123
	v_lshlrev_b32_e32 v220, 18, v123
	v_and_b32_e32 v219, 16, v219
	v_and_b32_e32 v220, 0x100000, v220
	;; [unrolled: 5-line block ×5, first 2 shown]
	v_or3_b32 v147, v220, v218, v219
	v_lshlrev_b32_e32 v218, 4, v121
	v_lshlrev_b32_e32 v219, 18, v121
	;; [unrolled: 1-line block ×3, first 2 shown]
	v_and_b32_e32 v218, 16, v218
	v_and_b32_e32 v219, 0x100000, v219
	;; [unrolled: 1-line block ×3, first 2 shown]
	v_or3_b32 v112, v219, v220, v218
	v_or3_b32 v219, v213, v113, v197
	v_lshlrev_b32_e32 v113, 11, v214
	v_and_b32_e32 v197, 0xf0f0f0f, v209
	v_and_b32_e32 v113, 0x1000, v113
	v_or3_b32 v215, v215, v113, v197
	v_lshlrev_b32_e32 v113, 4, v216
	v_lshlrev_b32_e32 v197, 11, v216
	v_and_b32_e32 v113, 16, v113
	v_and_b32_e32 v197, 0x1000, v197
	v_or3_b32 v214, v217, v113, v197
	s_clause 0x7
	global_load_dword v113, v[231:232], off offset:8
	global_load_dword v197, v[233:234], off offset:32
	;; [unrolled: 1-line block ×8, first 2 shown]
	v_mov_b32_e32 v244, 0
	s_waitcnt vmcnt(7)
	v_lshrrev_b32_e32 v113, 4, v113
	v_and_b32_e32 v113, 0xf0f0f0f, v113
	v_or3_b32 v220, v199, v43, v113
	v_lshlrev_b32_e32 v43, 4, v198
	v_lshlrev_b32_e32 v113, 11, v198
	v_and_b32_e32 v43, 16, v43
	v_and_b32_e32 v113, 0x1000, v113
	v_or3_b32 v216, v202, v43, v113
	global_load_dword v113, v[44:45], off offset:40
	v_lshlrev_b32_e32 v43, 11, v203
	v_and_b32_e32 v43, 0x1000, v43
	s_waitcnt vmcnt(0)
	v_and_b32_e32 v113, 0xf0f0f0f, v113
	v_or3_b32 v218, v204, v43, v113
	v_lshlrev_b32_e32 v43, 4, v205
	v_lshlrev_b32_e32 v113, 11, v205
	v_and_b32_e32 v43, 16, v43
	v_and_b32_e32 v113, 0x1000, v113
	v_or3_b32 v217, v206, v43, v113
	v_lshrrev_b32_e32 v43, 4, v197
	v_and_b32_e32 v43, 0xf0f0f0f, v43
	v_or3_b32 v213, v208, v37, v43
	v_lshlrev_b32_e32 v37, 4, v207
	v_lshlrev_b32_e32 v43, 11, v207
	v_and_b32_e32 v37, 16, v37
	v_and_b32_e32 v43, 0x1000, v43
	v_or3_b32 v210, v210, v37, v43
	global_load_dword v43, v[44:45], off offset:64
	v_lshlrev_b32_e32 v37, 11, v211
	v_and_b32_e32 v37, 0x1000, v37
	s_waitcnt vmcnt(0)
	v_and_b32_e32 v43, 0xf0f0f0f, v43
	v_or3_b32 v211, v212, v37, v43
	v_lshlrev_b32_e32 v37, 4, v221
	v_lshlrev_b32_e32 v43, 11, v221
	v_cvt_f32_f16_e32 v221, v42
	v_and_b32_e32 v37, 16, v37
	v_and_b32_e32 v43, 0x1000, v43
	v_or3_b32 v212, v222, v37, v43
	v_lshrrev_b32_e32 v37, 4, v209
	v_cvt_f32_f16_sdwa v222, v42 dst_sel:DWORD dst_unused:UNUSED_PAD src0_sel:WORD_1
	v_mov_b32_e32 v42, 0
	v_and_b32_e32 v37, 0xf0f0f0f, v37
	v_dot4c_i32_i8 v42, v214, v50
	v_or3_b32 v209, v224, v39, v37
	v_lshlrev_b32_e32 v37, 4, v223
	v_lshlrev_b32_e32 v39, 11, v223
	v_cvt_f32_i32_e32 v42, v42
	v_cvt_f32_f16_e32 v223, v36
	v_cvt_f32_f16_sdwa v36, v36 dst_sel:DWORD dst_unused:UNUSED_PAD src0_sel:WORD_1
	v_and_b32_e32 v37, 16, v37
	v_and_b32_e32 v39, 0x1000, v39
	v_cvt_f32_f16_e32 v224, v38
	v_or3_b32 v207, v225, v37, v39
	global_load_dword v39, v[44:45], off offset:88
	v_lshlrev_b32_e32 v37, 11, v226
	v_cvt_f32_f16_sdwa v225, v38 dst_sel:DWORD dst_unused:UNUSED_PAD src0_sel:WORD_1
	v_mov_b32_e32 v38, 0
	v_mul_f32_e32 v226, v6, v224
	v_and_b32_e32 v37, 0x1000, v37
	v_dot4c_i32_i8 v38, v210, v56
	v_cvt_f32_i32_e32 v38, v38
	s_waitcnt vmcnt(0)
	v_and_b32_e32 v39, 0xf0f0f0f, v39
	v_or3_b32 v208, v227, v37, v39
	v_lshlrev_b32_e32 v37, 4, v228
	v_lshlrev_b32_e32 v39, 11, v228
	v_cvt_f32_f16_sdwa v227, v40 dst_sel:DWORD dst_unused:UNUSED_PAD src0_sel:WORD_1
	v_mov_b32_e32 v228, 0
	v_and_b32_e32 v37, 16, v37
	v_and_b32_e32 v39, 0x1000, v39
	v_or3_b32 v206, v229, v37, v39
	v_lshrrev_b32_e32 v37, 4, v231
	v_lshlrev_b32_e32 v39, 11, v41
	v_and_b32_e32 v41, 0xf0f0f0f, v126
	v_mul_f32_e32 v229, v9, v227
	v_and_b32_e32 v37, 0xf0f0f0f, v37
	v_and_b32_e32 v39, 0x1000, v39
	v_mul_f32_e32 v231, 0x3e000000, v229
	v_or3_b32 v205, v230, v39, v37
	v_lshlrev_b32_e32 v37, 4, v0
	v_lshlrev_b32_e32 v0, 11, v0
	v_dot4c_i32_i8 v228, v205, v63
	v_and_b32_e32 v37, 16, v37
	v_and_b32_e32 v0, 0x1000, v0
	v_cvt_f32_i32_e32 v228, v228
	v_or3_b32 v202, v1, v37, v0
	v_lshlrev_b32_e32 v0, 11, v124
	v_and_b32_e32 v1, 0xf0f0f0f, v248
	v_mul_f32_e32 v124, v2, v221
	v_mov_b32_e32 v248, 0
	v_and_b32_e32 v0, 0x1000, v0
	v_or3_b32 v203, v249, v0, v1
	v_lshlrev_b32_e32 v0, 4, v250
	v_lshlrev_b32_e32 v1, 11, v250
	v_mov_b32_e32 v249, 0
	v_and_b32_e32 v0, 16, v0
	v_and_b32_e32 v1, 0x1000, v1
	v_or3_b32 v204, v125, v0, v1
	v_lshrrev_b32_e32 v0, 4, v232
	v_lshlrev_b32_e32 v1, 11, v123
	v_mov_b32_e32 v125, 0
	v_and_b32_e32 v0, 0xf0f0f0f, v0
	v_and_b32_e32 v1, 0x1000, v1
	v_dot4c_i32_i8 v125, v217, v54
	v_or3_b32 v199, v251, v1, v0
	v_lshlrev_b32_e32 v0, 4, v252
	v_lshlrev_b32_e32 v1, 11, v252
	v_cvt_f32_i32_e32 v125, v125
	v_and_b32_e32 v0, 16, v0
	v_and_b32_e32 v1, 0x1000, v1
	v_or3_b32 v197, v253, v0, v1
	global_load_dword v0, v[44:45], off offset:136
	v_lshlrev_b32_e32 v1, 11, v254
	v_and_b32_e32 v1, 0x1000, v1
	s_waitcnt vmcnt(0)
	v_and_b32_e32 v0, 0xf0f0f0f, v0
	v_or3_b32 v45, v255, v1, v0
	v_lshlrev_b32_e32 v0, 4, v189
	v_lshlrev_b32_e32 v1, 11, v189
	v_mul_f32_e32 v189, v7, v225
	v_and_b32_e32 v0, 16, v0
	v_and_b32_e32 v1, 0x1000, v1
	v_mul_f32_e32 v189, 0x3e000000, v189
	v_or3_b32 v43, v147, v0, v1
	v_lshrrev_b32_e32 v0, 4, v233
	v_lshlrev_b32_e32 v1, 11, v121
	v_mul_f32_e32 v147, v4, v223
	v_fma_f32 v230, v226, v38, v189
	v_mov_b32_e32 v38, 0
	v_and_b32_e32 v0, 0xf0f0f0f, v0
	v_and_b32_e32 v1, 0x1000, v1
	v_dot4c_i32_i8 v38, v207, v60
	v_or3_b32 v37, v112, v1, v0
	v_ashrrev_i32_e32 v0, v131, v119
	v_cvt_f32_i32_e32 v38, v38
	v_lshlrev_b32_e32 v1, 18, v0
	v_lshlrev_b32_e32 v39, 25, v0
	v_and_b32_e32 v1, 0x100000, v1
	v_and_b32_e32 v39, 0x10000000, v39
	v_or3_b32 v1, v39, v41, v1
	v_lshlrev_b32_e32 v39, 4, v0
	v_lshlrev_b32_e32 v0, 11, v0
	v_and_b32_e32 v39, 16, v39
	v_and_b32_e32 v0, 0x1000, v0
	v_or3_b32 v39, v1, v39, v0
	v_ashrrev_i32_e32 v0, v148, v119
	v_lshlrev_b32_e32 v1, 4, v0
	v_lshlrev_b32_e32 v41, 18, v0
	;; [unrolled: 1-line block ×4, first 2 shown]
	v_and_b32_e32 v1, 16, v1
	v_and_b32_e32 v41, 0x100000, v41
	;; [unrolled: 1-line block ×4, first 2 shown]
	v_or3_b32 v1, v41, v44, v1
	v_and_b32_e32 v41, 0xf0f0f0f, v130
	v_mul_f32_e32 v130, v5, v36
	v_or3_b32 v41, v1, v0, v41
	v_ashrrev_i32_e32 v1, v150, v119
	v_lshrrev_b32_e32 v0, 4, v126
	v_mov_b32_e32 v126, 0
	v_mul_f32_e32 v130, 0x3e000000, v130
	v_lshlrev_b32_e32 v44, 18, v1
	v_lshlrev_b32_e32 v112, 25, v1
	v_and_b32_e32 v0, 0xf0f0f0f, v0
	v_dot4c_i32_i8 v126, v213, v55
	v_fma_f32 v125, v147, v125, v130
	v_and_b32_e32 v44, 0x100000, v44
	v_and_b32_e32 v112, 0x10000000, v112
	v_cvt_f32_i32_e32 v126, v126
	v_or3_b32 v0, v112, v0, v44
	v_lshlrev_b32_e32 v44, 4, v1
	v_lshlrev_b32_e32 v1, 11, v1
	v_and_b32_e32 v44, 16, v44
	v_and_b32_e32 v1, 0x1000, v1
	v_or3_b32 v44, v0, v44, v1
	v_ashrrev_i32_e32 v0, v168, v119
	v_lshlrev_b32_e32 v1, 4, v0
	v_lshlrev_b32_e32 v112, 18, v0
	;; [unrolled: 1-line block ×4, first 2 shown]
	v_and_b32_e32 v1, 16, v1
	v_and_b32_e32 v112, 0x100000, v112
	;; [unrolled: 1-line block ×4, first 2 shown]
	v_or3_b32 v1, v112, v113, v1
	v_lshrrev_b32_e32 v112, 4, v234
	v_and_b32_e32 v113, 0xf0f0f0f, v151
	v_mov_b32_e32 v234, 0
	v_and_b32_e32 v112, 0xf0f0f0f, v112
	v_dot4c_i32_i8 v234, v199, v67
	v_or3_b32 v119, v1, v0, v112
	v_ashrrev_i32_e32 v0, v131, v117
	v_cvt_f32_i32_e32 v234, v234
	v_dot4c_i32_i8 v244, v119, v75
	v_lshlrev_b32_e32 v1, 18, v0
	v_lshlrev_b32_e32 v112, 25, v0
	v_cvt_f32_i32_e32 v244, v244
	v_and_b32_e32 v1, 0x100000, v1
	v_and_b32_e32 v112, 0x10000000, v112
	v_or3_b32 v1, v112, v113, v1
	v_lshlrev_b32_e32 v112, 4, v0
	v_lshlrev_b32_e32 v0, 11, v0
	v_and_b32_e32 v112, 16, v112
	v_and_b32_e32 v0, 0x1000, v0
	v_or3_b32 v121, v1, v112, v0
	v_ashrrev_i32_e32 v0, v148, v117
	v_lshlrev_b32_e32 v1, 4, v0
	v_lshlrev_b32_e32 v112, 18, v0
	;; [unrolled: 1-line block ×4, first 2 shown]
	v_and_b32_e32 v1, 16, v1
	v_and_b32_e32 v112, 0x100000, v112
	;; [unrolled: 1-line block ×4, first 2 shown]
	v_or3_b32 v1, v112, v113, v1
	v_and_b32_e32 v112, 0xf0f0f0f, v247
	v_or3_b32 v123, v1, v0, v112
	v_ashrrev_i32_e32 v1, v150, v117
	v_lshrrev_b32_e32 v0, 4, v151
	v_mov_b32_e32 v151, 0
	v_lshlrev_b32_e32 v112, 18, v1
	v_lshlrev_b32_e32 v113, 25, v1
	v_and_b32_e32 v0, 0xf0f0f0f, v0
	v_dot4c_i32_i8 v151, v209, v59
	v_and_b32_e32 v112, 0x100000, v112
	v_and_b32_e32 v113, 0x10000000, v113
	v_cvt_f32_i32_e32 v151, v151
	v_or3_b32 v0, v113, v0, v112
	v_lshlrev_b32_e32 v112, 4, v1
	v_lshlrev_b32_e32 v1, 11, v1
	v_and_b32_e32 v112, 16, v112
	v_and_b32_e32 v1, 0x1000, v1
	v_or3_b32 v198, v0, v112, v1
	v_ashrrev_i32_e32 v0, v171, v117
	v_dot4c_i32_i8 v248, v198, v78
	v_lshlrev_b32_e32 v1, 4, v0
	v_lshlrev_b32_e32 v112, 18, v0
	v_lshlrev_b32_e32 v113, 25, v0
	v_lshlrev_b32_e32 v0, 11, v0
	v_cvt_f32_i32_e32 v248, v248
	v_and_b32_e32 v1, 16, v1
	v_and_b32_e32 v112, 0x100000, v112
	;; [unrolled: 1-line block ×4, first 2 shown]
	v_or3_b32 v1, v112, v113, v1
	v_lshrrev_b32_e32 v112, 4, v235
	v_mul_f32_e32 v113, v3, v222
	v_and_b32_e32 v112, 0xf0f0f0f, v112
	v_mul_f32_e32 v113, 0x3e000000, v113
	v_or3_b32 v117, v1, v0, v112
	v_mov_b32_e32 v0, 0
	v_mov_b32_e32 v1, 0
	;; [unrolled: 1-line block ×3, first 2 shown]
	v_fma_f32 v42, v124, v42, v113
	v_dot4c_i32_i8 v249, v117, v79
	v_dot4c_i32_i8 v0, v219, v48
	;; [unrolled: 1-line block ×4, first 2 shown]
	v_cvt_f32_i32_e32 v249, v249
	v_cvt_f32_i32_e32 v0, v0
	;; [unrolled: 1-line block ×4, first 2 shown]
	v_fma_f32 v0, v124, v0, v113
	v_fma_f32 v1, v124, v1, v113
	v_fmac_f32_e32 v113, v124, v112
	v_mov_b32_e32 v112, 0
	v_mov_b32_e32 v124, 0
	v_add_f32_e32 v0, 0, v0
	v_dot4c_i32_i8 v112, v216, v52
	v_dot4c_i32_i8 v124, v218, v53
	v_add_f32_e32 v0, v0, v1
	v_cvt_f32_i32_e32 v112, v112
	v_cvt_f32_i32_e32 v124, v124
	v_add_f32_e32 v0, v42, v0
	v_fma_f32 v112, v147, v112, v130
	v_fma_f32 v124, v147, v124, v130
	v_add_f32_e32 v0, v0, v113
	v_fmac_f32_e32 v130, v147, v126
	v_mov_b32_e32 v126, 0
	v_mov_b32_e32 v147, 0
	v_add_f32_e32 v0, v0, v112
	v_dot4c_i32_i8 v126, v211, v57
	v_dot4c_i32_i8 v147, v212, v58
	v_add_f32_e32 v0, v0, v124
	v_cvt_f32_i32_e32 v126, v126
	v_cvt_f32_i32_e32 v147, v147
	v_add_f32_e32 v0, v125, v0
	v_fma_f32 v126, v226, v126, v189
	v_fma_f32 v147, v226, v147, v189
	v_fmac_f32_e32 v189, v226, v151
	v_add_f32_e32 v0, v0, v130
	v_cvt_f32_f16_e32 v226, v40
	v_mov_b32_e32 v40, 0
	v_mov_b32_e32 v151, 0
	v_add_f32_e32 v0, v0, v230
	v_mul_f32_e32 v229, v8, v226
	v_dot4c_i32_i8 v40, v208, v61
	v_dot4c_i32_i8 v151, v206, v62
                                        ; implicit-def: $vgpr230
	v_add_f32_e32 v0, v0, v126
	v_fma_f32 v232, v229, v38, v231
	v_cvt_f32_i32_e32 v40, v40
	v_cvt_f32_i32_e32 v151, v151
	v_cvt_f32_f16_e32 v38, v122
	v_add_f32_e32 v0, v147, v0
	v_fma_f32 v233, v229, v40, v231
	v_cvt_f32_f16_sdwa v40, v122 dst_sel:DWORD dst_unused:UNUSED_PAD src0_sel:WORD_1
	v_mov_b32_e32 v122, 0
	v_add_f32_e32 v0, v0, v189
	v_fma_f32 v151, v229, v151, v231
	v_fmac_f32_e32 v231, v229, v228
	v_mov_b32_e32 v228, 0
	v_dot4c_i32_i8 v122, v202, v64
	v_add_f32_e32 v0, v0, v232
	v_mul_f32_e32 v235, v11, v40
	v_mov_b32_e32 v229, 0
	v_dot4c_i32_i8 v228, v203, v65
	v_cvt_f32_i32_e32 v122, v122
	v_add_f32_e32 v0, v0, v233
	v_mul_f32_e32 v235, 0x3e000000, v235
	v_mul_f32_e32 v236, v10, v38
	v_dot4c_i32_i8 v229, v204, v66
	v_cvt_f32_i32_e32 v228, v228
	v_add_f32_e32 v0, v151, v0
	v_fma_f32 v237, v236, v122, v235
	v_cvt_f32_i32_e32 v229, v229
	v_fma_f32 v238, v236, v228, v235
	v_add_f32_e32 v0, v0, v231
	v_cvt_f32_f16_e32 v122, v120
	v_cvt_f32_f16_sdwa v120, v120 dst_sel:DWORD dst_unused:UNUSED_PAD src0_sel:WORD_1
	v_mov_b32_e32 v228, 0
	v_fma_f32 v239, v236, v229, v235
	v_add_f32_e32 v0, v0, v237
	v_mov_b32_e32 v229, 0
	v_mul_f32_e32 v240, v13, v120
	v_dot4c_i32_i8 v228, v197, v68
	v_fmac_f32_e32 v235, v236, v234
	v_add_f32_e32 v0, v0, v238
	v_dot4c_i32_i8 v229, v45, v69
	v_mov_b32_e32 v234, 0
	v_cvt_f32_i32_e32 v228, v228
	v_mov_b32_e32 v236, 0
	v_mul_f32_e32 v240, 0x3e000000, v240
	v_mul_f32_e32 v241, v12, v122
	v_add_f32_e32 v0, v239, v0
	v_dot4c_i32_i8 v234, v43, v70
	v_dot4c_i32_i8 v236, v37, v71
	v_cvt_f32_i32_e32 v229, v229
	v_fma_f32 v242, v241, v228, v240
	v_add_f32_e32 v0, v0, v235
	v_cvt_f32_i32_e32 v234, v234
	v_cvt_f32_i32_e32 v236, v236
	v_fma_f32 v243, v241, v229, v240
	v_cvt_f32_f16_e32 v228, v118
	v_cvt_f32_f16_sdwa v118, v118 dst_sel:DWORD dst_unused:UNUSED_PAD src0_sel:WORD_1
	v_mov_b32_e32 v229, 0
	v_add_f32_e32 v0, v0, v242
	v_fma_f32 v234, v241, v234, v240
	v_fmac_f32_e32 v240, v241, v236
	v_mov_b32_e32 v236, 0
	v_dot4c_i32_i8 v229, v39, v72
	v_mov_b32_e32 v241, 0
	v_mul_f32_e32 v245, v15, v118
	v_add_f32_e32 v0, v0, v243
	v_dot4c_i32_i8 v236, v41, v73
	v_cvt_f32_i32_e32 v229, v229
	v_dot4c_i32_i8 v241, v44, v74
	v_mul_f32_e32 v245, 0x3e000000, v245
	v_mul_f32_e32 v246, v14, v228
	v_add_f32_e32 v0, v234, v0
	v_cvt_f32_i32_e32 v236, v236
	v_cvt_f32_i32_e32 v241, v241
	v_fma_f32 v247, v246, v229, v245
	v_add_f32_e32 v0, v0, v240
	v_fma_f32 v236, v246, v236, v245
	v_fma_f32 v241, v246, v241, v245
	v_fmac_f32_e32 v245, v246, v244
	v_cvt_f32_f16_e32 v229, v116
	v_cvt_f32_f16_sdwa v116, v116 dst_sel:DWORD dst_unused:UNUSED_PAD src0_sel:WORD_1
	v_mov_b32_e32 v244, 0
	v_add_f32_e32 v0, v0, v247
	v_mov_b32_e32 v246, 0
	v_mul_f32_e32 v251, v16, v229
	v_mul_f32_e32 v250, v17, v116
	v_dot4c_i32_i8 v244, v121, v76
	v_add_f32_e32 v0, v0, v236
	v_dot4c_i32_i8 v246, v123, v77
	v_mul_f32_e32 v250, 0x3e000000, v250
	v_cvt_f32_i32_e32 v244, v244
	v_add_f32_e32 v0, v241, v0
	v_cvt_f32_i32_e32 v246, v246
	v_fma_f32 v248, v251, v248, v250
	v_fma_f32 v244, v251, v244, v250
	v_add_f32_e32 v0, v0, v245
	v_fma_f32 v246, v251, v246, v250
	v_fmac_f32_e32 v250, v251, v249
	v_add_f32_e32 v0, v0, v244
	v_add_f32_e32 v0, v0, v246
	;; [unrolled: 1-line block ×4, first 2 shown]
	ds_bpermute_b32 v1, v174, v0
	s_waitcnt lgkmcnt(0)
	v_add_f32_e32 v42, v0, v1
	v_cmp_ngt_f32_e64 s13, 0x3f200000, |v42|
	s_and_saveexec_b32 s19, s13
	s_xor_b32 s13, exec_lo, s19
	s_cbranch_execz .LBB31_36
; %bb.35:                               ;   in Loop: Header=BB31_22 Depth=1
	v_add_f32_e64 v0, |v42|, |v42|
	v_mul_f32_e32 v1, 0x3fb8aa3b, v0
	v_cmp_ngt_f32_e32 vcc_lo, 0xc2ce8ed0, v0
	v_rndne_f32_e32 v112, v1
	v_fma_f32 v113, 0x3fb8aa3b, v0, -v1
	v_sub_f32_e32 v1, v1, v112
	v_fmac_f32_e32 v113, 0x32a5705f, v0
	v_cvt_i32_f32_e32 v112, v112
	v_add_f32_e32 v1, v1, v113
	v_exp_f32_e32 v1, v1
	v_ldexp_f32 v1, v1, v112
	v_cndmask_b32_e32 v1, 0, v1, vcc_lo
	v_cmp_nlt_f32_e32 vcc_lo, 0x42b17218, v0
	v_cndmask_b32_e32 v0, 0x7f800000, v1, vcc_lo
	v_add_f32_e32 v0, 1.0, v0
	v_rcp_f32_e32 v0, v0
	v_fma_f32 v230, v0, -2.0, 1.0
.LBB31_36:                              ;   in Loop: Header=BB31_22 Depth=1
	s_andn2_saveexec_b32 s13, s13
	s_cbranch_execz .LBB31_38
; %bb.37:                               ;   in Loop: Header=BB31_22 Depth=1
	v_mul_f32_e32 v0, v42, v42
	v_fmaak_f32 v1, s12, v0, 0x3ca908c9
	v_fmaak_f32 v1, v0, v1, 0xbd5c1c4e
	;; [unrolled: 1-line block ×4, first 2 shown]
	v_mul_f32_e64 v1, |v42|, v1
	v_fma_f32 v230, v0, v1, |v42|
.LBB31_38:                              ;   in Loop: Header=BB31_22 Depth=1
	s_or_b32 exec_lo, exec_lo, s13
	v_bfi_b32 v0, 0x7fffffff, v230, v42
	s_andn2_b32 vcc_lo, exec_lo, s18
	v_mul_f32_e32 v42, s41, v0
	s_cbranch_vccnz .LBB31_40
; %bb.39:                               ;   in Loop: Header=BB31_22 Depth=1
	global_load_ushort v0, v196, s[4:5] offset:2
	s_waitcnt vmcnt(0)
	v_fma_mix_f32 v42, v127, v0, v42 op_sel_hi:[0,1,0]
.LBB31_40:                              ;   in Loop: Header=BB31_22 Depth=1
	v_mov_b32_e32 v0, 0
	v_mov_b32_e32 v1, 0
	;; [unrolled: 1-line block ×4, first 2 shown]
	v_mul_f32_e32 v124, v19, v222
	v_dot4c_i32_i8 v0, v219, v80
	v_dot4c_i32_i8 v1, v215, v81
	;; [unrolled: 1-line block ×4, first 2 shown]
	v_mul_f32_e32 v125, v18, v221
	v_mul_f32_e32 v124, 0x3e000000, v124
	v_cvt_f32_i32_e32 v0, v0
	v_cvt_f32_i32_e32 v1, v1
	;; [unrolled: 1-line block ×4, first 2 shown]
	v_mov_b32_e32 v126, 0
	v_fma_f32 v0, v125, v0, v124
	v_fma_f32 v1, v125, v1, v124
	;; [unrolled: 1-line block ×3, first 2 shown]
	v_fmac_f32_e32 v124, v125, v113
	v_mov_b32_e32 v113, 0
	v_mov_b32_e32 v125, 0
	;; [unrolled: 1-line block ×3, first 2 shown]
	v_dot4c_i32_i8 v126, v217, v86
	v_mul_f32_e32 v36, v21, v36
	v_dot4c_i32_i8 v113, v216, v84
	v_dot4c_i32_i8 v125, v218, v85
	;; [unrolled: 1-line block ×3, first 2 shown]
	v_add_f32_e32 v0, 0, v0
	v_mul_f32_e32 v147, v20, v223
	v_mul_f32_e32 v36, 0x3e000000, v36
	v_cvt_f32_i32_e32 v113, v113
	v_cvt_f32_i32_e32 v125, v125
	;; [unrolled: 1-line block ×4, first 2 shown]
	v_add_f32_e32 v0, v0, v1
	v_fma_f32 v113, v147, v113, v36
	v_fma_f32 v125, v147, v125, v36
	;; [unrolled: 1-line block ×3, first 2 shown]
	v_fmac_f32_e32 v36, v147, v130
	v_mov_b32_e32 v130, 0
	v_mov_b32_e32 v147, 0
	;; [unrolled: 1-line block ×4, first 2 shown]
	v_add_f32_e32 v0, v112, v0
	v_dot4c_i32_i8 v130, v210, v88
	v_dot4c_i32_i8 v147, v211, v89
	;; [unrolled: 1-line block ×4, first 2 shown]
	v_mul_f32_e32 v196, v23, v225
	v_add_f32_e32 v0, v0, v124
	v_mul_f32_e32 v209, v22, v224
	v_cvt_f32_i32_e32 v130, v130
	v_cvt_f32_i32_e32 v147, v147
	v_mul_f32_e32 v196, 0x3e000000, v196
	v_cvt_f32_i32_e32 v151, v151
	v_cvt_f32_i32_e32 v189, v189
	v_add_f32_e32 v0, v0, v113
	v_mov_b32_e32 v1, 0
	v_fma_f32 v130, v209, v130, v196
	v_fma_f32 v147, v209, v147, v196
	;; [unrolled: 1-line block ×3, first 2 shown]
	v_fmac_f32_e32 v196, v209, v189
	v_mov_b32_e32 v189, 0
	v_add_f32_e32 v0, v0, v125
	v_mul_f32_e32 v209, v24, v226
	v_dot4c_i32_i8 v1, v202, v96
	v_mul_f32_e32 v40, v27, v40
	v_dot4c_i32_i8 v189, v207, v92
	v_mov_b32_e32 v207, 0
	v_add_f32_e32 v0, v126, v0
	v_mov_b32_e32 v112, 0
	v_mul_f32_e32 v38, v26, v38
	v_cvt_f32_i32_e32 v189, v189
	v_dot4c_i32_i8 v207, v208, v93
	v_mov_b32_e32 v208, 0
	v_add_f32_e32 v0, v0, v36
	v_mov_b32_e32 v36, 0
	v_cvt_f32_i32_e32 v1, v1
	v_cvt_f32_i32_e32 v207, v207
	v_dot4c_i32_i8 v208, v206, v94
	v_mov_b32_e32 v206, 0
	v_add_f32_e32 v0, v0, v130
	v_dot4c_i32_i8 v36, v203, v97
	v_mul_f32_e32 v40, 0x3e000000, v40
	v_cvt_f32_i32_e32 v208, v208
	v_dot4c_i32_i8 v206, v205, v95
	v_mul_f32_e32 v205, v25, v227
	v_add_f32_e32 v0, v0, v147
	v_mov_b32_e32 v113, 0
	v_dot4c_i32_i8 v112, v204, v98
	v_cvt_f32_i32_e32 v206, v206
	v_mul_f32_e32 v205, 0x3e000000, v205
	v_add_f32_e32 v0, v151, v0
	v_cvt_f32_i32_e32 v36, v36
	v_fma_f32 v1, v38, v1, v40
	v_dot4c_i32_i8 v113, v199, v99
	v_fma_f32 v189, v209, v189, v205
	v_add_f32_e32 v0, v0, v196
	v_fma_f32 v207, v209, v207, v205
	v_fma_f32 v208, v209, v208, v205
	v_fmac_f32_e32 v205, v209, v206
	v_cvt_f32_i32_e32 v112, v112
	v_add_f32_e32 v0, v0, v189
	v_fma_f32 v36, v38, v36, v40
	v_fma_f32 v112, v38, v112, v40
	v_add_f32_e32 v0, v0, v207
	v_add_f32_e32 v0, v208, v0
	;; [unrolled: 1-line block ×4, first 2 shown]
	v_cvt_f32_i32_e32 v1, v113
	v_mov_b32_e32 v113, 0
	v_add_f32_e32 v0, v0, v36
	v_fmac_f32_e32 v40, v38, v1
	v_dot4c_i32_i8 v113, v197, v100
	v_mul_f32_e32 v1, v29, v120
	v_mov_b32_e32 v36, 0
	v_add_f32_e32 v0, v112, v0
	v_mul_f32_e32 v38, v28, v122
	v_cvt_f32_i32_e32 v112, v113
	v_mul_f32_e32 v1, 0x3e000000, v1
	v_dot4c_i32_i8 v36, v45, v101
	v_mov_b32_e32 v45, 0
	v_add_f32_e32 v0, v0, v40
	v_fma_f32 v40, v38, v112, v1
	v_cvt_f32_i32_e32 v36, v36
	v_dot4c_i32_i8 v45, v43, v102
	v_add_f32_e32 v0, v0, v40
	v_fma_f32 v36, v38, v36, v1
	v_mov_b32_e32 v40, 0
	v_cvt_f32_i32_e32 v43, v45
	v_add_f32_e32 v0, v0, v36
	v_dot4c_i32_i8 v40, v37, v103
	v_fma_f32 v36, v38, v43, v1
	v_mov_b32_e32 v37, 0
	v_cvt_f32_i32_e32 v40, v40
	v_add_f32_e32 v0, v36, v0
	v_dot4c_i32_i8 v37, v39, v104
	v_mul_f32_e32 v36, v31, v118
	v_mov_b32_e32 v39, 0
	v_fmac_f32_e32 v1, v38, v40
	v_mul_f32_e32 v38, v30, v228
	v_cvt_f32_i32_e32 v37, v37
	v_mul_f32_e32 v36, 0x3e000000, v36
	v_dot4c_i32_i8 v39, v41, v105
	v_mov_b32_e32 v40, 0
	v_add_f32_e32 v0, v0, v1
	v_fma_f32 v1, v38, v37, v36
	v_cvt_f32_i32_e32 v37, v39
	v_dot4c_i32_i8 v40, v44, v106
	v_add_f32_e32 v0, v0, v1
	v_fma_f32 v1, v38, v37, v36
	v_mov_b32_e32 v37, 0
	v_cvt_f32_i32_e32 v39, v40
	v_mov_b32_e32 v40, 0
	v_add_f32_e32 v0, v0, v1
	v_dot4c_i32_i8 v37, v119, v107
	v_fma_f32 v1, v38, v39, v36
	v_mov_b32_e32 v39, 0
	v_dot4c_i32_i8 v40, v123, v109
	v_cvt_f32_i32_e32 v37, v37
	v_add_f32_e32 v0, v1, v0
	v_dot4c_i32_i8 v39, v121, v108
	v_mul_f32_e32 v1, v33, v116
	v_fmac_f32_e32 v36, v38, v37
	v_mul_f32_e32 v37, v32, v229
	v_cvt_f32_i32_e32 v38, v39
	v_mul_f32_e32 v1, 0x3e000000, v1
	v_mov_b32_e32 v39, 0
	v_add_f32_e32 v0, v0, v36
	v_fma_f32 v36, v37, v38, v1
	v_cvt_f32_i32_e32 v38, v40
	v_dot4c_i32_i8 v39, v198, v110
	v_mov_b32_e32 v40, 0
	v_add_f32_e32 v0, v0, v36
	v_fma_f32 v36, v37, v38, v1
	v_cvt_f32_i32_e32 v38, v39
	v_dot4c_i32_i8 v40, v117, v111
	v_add_f32_e32 v0, v0, v36
	v_fma_f32 v36, v37, v38, v1
	v_cvt_f32_i32_e32 v38, v40
	v_add_f32_e32 v0, v36, v0
	v_fmac_f32_e32 v1, v37, v38
                                        ; implicit-def: $vgpr37
	v_add_f32_e32 v0, v0, v1
	ds_bpermute_b32 v1, v174, v0
	s_waitcnt lgkmcnt(0)
	v_add_f32_e32 v36, v0, v1
	v_cmp_ngt_f32_e64 s13, 0x3f200000, |v36|
	s_and_saveexec_b32 s19, s13
	s_xor_b32 s13, exec_lo, s19
	s_cbranch_execz .LBB31_42
; %bb.41:                               ;   in Loop: Header=BB31_22 Depth=1
	v_add_f32_e64 v0, |v36|, |v36|
	v_mul_f32_e32 v1, 0x3fb8aa3b, v0
	v_cmp_ngt_f32_e32 vcc_lo, 0xc2ce8ed0, v0
	v_rndne_f32_e32 v37, v1
	v_fma_f32 v38, 0x3fb8aa3b, v0, -v1
	v_sub_f32_e32 v1, v1, v37
	v_fmac_f32_e32 v38, 0x32a5705f, v0
	v_cvt_i32_f32_e32 v37, v37
	v_add_f32_e32 v1, v1, v38
	v_exp_f32_e32 v1, v1
	v_ldexp_f32 v1, v1, v37
	v_cndmask_b32_e32 v1, 0, v1, vcc_lo
	v_cmp_nlt_f32_e32 vcc_lo, 0x42b17218, v0
	v_cndmask_b32_e32 v0, 0x7f800000, v1, vcc_lo
	v_add_f32_e32 v0, 1.0, v0
	v_rcp_f32_e32 v0, v0
	v_fma_f32 v37, v0, -2.0, 1.0
.LBB31_42:                              ;   in Loop: Header=BB31_22 Depth=1
	s_andn2_saveexec_b32 s13, s13
	s_cbranch_execz .LBB31_44
; %bb.43:                               ;   in Loop: Header=BB31_22 Depth=1
	v_mul_f32_e32 v0, v36, v36
	v_fmaak_f32 v1, s12, v0, 0x3ca908c9
	v_fmaak_f32 v1, v0, v1, 0xbd5c1c4e
	;; [unrolled: 1-line block ×4, first 2 shown]
	v_mul_f32_e64 v1, |v36|, v1
	v_fma_f32 v37, v0, v1, |v36|
.LBB31_44:                              ;   in Loop: Header=BB31_22 Depth=1
	s_or_b32 exec_lo, exec_lo, s13
	v_bfi_b32 v0, 0x7fffffff, v37, v36
	s_andn2_b32 vcc_lo, exec_lo, s10
	v_mul_f32_e32 v43, s41, v0
	s_cbranch_vccnz .LBB31_21
; %bb.45:                               ;   in Loop: Header=BB31_22 Depth=1
	s_clause 0x1
	buffer_load_dword v0, off, s[56:59], 0 offset:12
	buffer_load_dword v1, off, s[56:59], 0 offset:16
	s_waitcnt vmcnt(1)
	v_add_co_u32 v36, vcc_lo, s4, v0
	s_waitcnt vmcnt(0)
	v_add_co_ci_u32_e64 v37, null, s5, v1, vcc_lo
	global_load_ushort v0, v[36:37], off offset:2
	s_waitcnt vmcnt(0)
	v_fma_mix_f32 v43, v127, v0, v43 op_sel_hi:[0,1,0]
	s_branch .LBB31_21
.LBB31_46:
	s_clause 0x4
	buffer_load_dword v41, off, s[56:59], 0 offset:20
	buffer_load_dword v38, off, s[56:59], 0 offset:24
	;; [unrolled: 1-line block ×5, first 2 shown]
	v_mbcnt_lo_u32_b32 v43, -1, 0
.LBB31_47:
	s_cmp_eq_u64 s[20:21], 0
	s_cselect_b32 s1, -1, 0
	s_cmp_lg_u32 s34, 0
	s_cselect_b32 s2, -1, 0
	s_or_b32 s1, s2, s1
	s_nor_b32 s0, s1, s0
	s_and_saveexec_b32 s1, s0
	s_cbranch_execz .LBB31_49
; %bb.48:
	s_ashr_i32 s39, s38, 31
	s_waitcnt vmcnt(3)
	v_cmp_eq_u32_e32 vcc_lo, 1, v38
	s_lshl_b64 s[2:3], s[38:39], 2
	v_lshl_add_u32 v9, v38, 4, v129
	s_add_u32 s2, s20, s2
	s_addc_u32 s3, s21, s3
	v_cndmask_b32_e32 v0, v116, v117, vcc_lo
	s_load_dword s0, s[2:3], 0x0
	v_max_f32_e32 v1, v0, v0
	s_waitcnt lgkmcnt(0)
	v_max_f32_e64 v2, s0, s0
	v_max_f32_e32 v1, v1, v2
	v_sub_f32_e32 v0, v0, v1
	v_sub_f32_e32 v6, s0, v1
	v_cndmask_b32_e32 v117, v117, v1, vcc_lo
	v_mul_f32_e32 v2, 0x3fb8aa3b, v0
	v_mul_f32_e32 v3, 0x3fb8aa3b, v6
	v_cmp_ngt_f32_e64 s0, 0xc2ce8ed0, v0
	v_fma_f32 v4, 0x3fb8aa3b, v0, -v2
	v_rndne_f32_e32 v5, v2
	v_fma_f32 v7, 0x3fb8aa3b, v6, -v3
	v_rndne_f32_e32 v8, v3
	v_fmac_f32_e32 v4, 0x32a5705f, v0
	v_sub_f32_e32 v2, v2, v5
	v_fmac_f32_e32 v7, 0x32a5705f, v6
	v_sub_f32_e32 v3, v3, v8
	v_cvt_i32_f32_e32 v8, v8
	v_add_f32_e32 v2, v2, v4
	v_add_f32_e32 v3, v3, v7
	v_exp_f32_e32 v2, v2
	v_exp_f32_e32 v7, v3
	v_cvt_i32_f32_e32 v3, v5
	v_ldexp_f32 v10, v2, v3
	ds_read_b128 v[2:5], v9
	v_ldexp_f32 v7, v7, v8
	v_cndmask_b32_e64 v8, 0, v10, s0
	v_cmp_ngt_f32_e64 s0, 0xc2ce8ed0, v6
	v_cndmask_b32_e32 v10, v46, v47, vcc_lo
	v_cndmask_b32_e64 v7, 0, v7, s0
	v_cmp_nlt_f32_e64 s0, 0x42b17218, v0
	v_cndmask_b32_e64 v0, 0x7f800000, v8, s0
	v_cmp_nlt_f32_e64 s0, 0x42b17218, v6
	v_mov_b32_e32 v8, 0x10001
	v_cndmask_b32_e64 v6, 0x7f800000, v7, s0
	v_cmp_eq_u32_e64 s0, 0, v41
	v_cvt_f16_f32_e32 v7, v0
	v_cndmask_b32_e64 v6, 0, v6, s0
	v_mul_u32_u24_sdwa v7, v7, v8 dst_sel:DWORD dst_unused:UNUSED_PAD src0_sel:WORD_0 src1_sel:DWORD
	v_cmp_eq_u32_e64 s0, 0, v38
	v_fmac_f32_e32 v6, v10, v0
	s_waitcnt lgkmcnt(0)
	v_pk_mul_f16 v2, v2, v7
	v_cndmask_b32_e64 v116, v116, v1, s0
	v_pk_mul_f16 v3, v3, v7
	v_pk_mul_f16 v4, v4, v7
	;; [unrolled: 1-line block ×3, first 2 shown]
	v_cndmask_b32_e32 v47, v47, v6, vcc_lo
	v_cndmask_b32_e64 v46, v46, v6, s0
	ds_write_b128 v9, v[2:5]
.LBB31_49:
	s_or_b32 exec_lo, exec_lo, s1
	s_waitcnt vmcnt(1)
	v_add_nc_u32_e32 v4, 0x900, v42
	v_or_b32_e32 v10, 0x800, v42
	s_mov_b32 s0, exec_lo
	v_cmpx_eq_u32_e32 0, v38
	s_cbranch_execz .LBB31_51
; %bb.50:
	v_mov_b32_e32 v0, 0xfeffffff
	v_mov_b32_e32 v1, 0
	ds_write2_b32 v10, v0, v0 offset1:32
	ds_write2_b32 v4, v1, v1 offset1:32
.LBB31_51:
	s_or_b32 exec_lo, exec_lo, s0
	v_cmp_eq_u32_e64 s0, 0, v41
	s_waitcnt vmcnt(0) lgkmcnt(0)
	s_waitcnt_vscnt null, 0x0
	s_barrier
	buffer_gl0_inv
	s_and_saveexec_b32 s1, s0
; %bb.52:
	v_lshlrev_b32_e32 v0, 2, v38
	v_add_nc_u32_e32 v0, 0x800, v0
	ds_write2_b32 v0, v116, v117 offset1:32
; %bb.53:
	s_or_b32 exec_lo, exec_lo, s1
	s_cmp_lt_i32 s35, s36
	s_waitcnt lgkmcnt(0)
	s_barrier
	buffer_gl0_inv
	s_cbranch_scc1 .LBB31_55
; %bb.54:
	s_load_dword s3, s[6:7], 0xd4
	s_cbranch_execz .LBB31_56
	s_branch .LBB31_63
.LBB31_55:
                                        ; implicit-def: $sgpr3
.LBB31_56:
	ds_read_b32 v0, v10
	v_xor_b32_e32 v1, 16, v43
	v_xor_b32_e32 v2, 8, v43
	s_waitcnt lgkmcnt(0)
	s_load_dword s3, s[6:7], 0xd4
	v_lshlrev_b32_e32 v20, 3, v41
	v_cmp_gt_i32_e32 vcc_lo, 32, v1
	v_cndmask_b32_e32 v1, v43, v1, vcc_lo
	v_cmp_gt_i32_e32 vcc_lo, 32, v2
	v_lshlrev_b32_e32 v5, 2, v1
	v_cndmask_b32_e32 v2, v43, v2, vcc_lo
	ds_bpermute_b32 v1, v5, v0
	v_max_f32_e32 v0, v0, v0
	v_lshlrev_b32_e32 v6, 2, v2
	v_xor_b32_e32 v2, 4, v43
	v_cmp_gt_i32_e32 vcc_lo, 32, v2
	v_cndmask_b32_e32 v2, v43, v2, vcc_lo
	v_lshlrev_b32_e32 v7, 2, v2
	v_xor_b32_e32 v2, 2, v43
	s_waitcnt lgkmcnt(0)
	v_max_f32_e32 v1, v1, v1
	v_cmp_gt_i32_e32 vcc_lo, 32, v2
	v_max_f32_e32 v0, v0, v1
	v_cndmask_b32_e32 v2, v43, v2, vcc_lo
	ds_bpermute_b32 v1, v6, v0
	v_lshlrev_b32_e32 v9, 2, v2
	v_xor_b32_e32 v2, 1, v43
	v_cmp_gt_i32_e32 vcc_lo, 32, v2
	v_cndmask_b32_e32 v2, v43, v2, vcc_lo
	v_lshlrev_b32_e32 v8, 2, v2
	s_waitcnt lgkmcnt(0)
	v_max_f32_e32 v1, v1, v1
	v_max_f32_e32 v0, v0, v1
	ds_bpermute_b32 v1, v7, v0
	s_waitcnt lgkmcnt(0)
	v_max_f32_e32 v1, v1, v1
	v_max_f32_e32 v0, v0, v1
	ds_bpermute_b32 v1, v9, v0
	;; [unrolled: 4-line block ×3, first 2 shown]
	s_waitcnt lgkmcnt(0)
	v_max_f32_e32 v1, v1, v1
	v_max_f32_e32 v2, v0, v1
	v_sub_f32_e32 v0, v116, v2
	v_mul_f32_e32 v1, 0x3fb8aa3b, v0
	v_cmp_ngt_f32_e32 vcc_lo, 0xc2ce8ed0, v0
	v_fma_f32 v3, 0x3fb8aa3b, v0, -v1
	v_rndne_f32_e32 v11, v1
	v_fmamk_f32 v3, v0, 0x32a5705f, v3
	v_sub_f32_e32 v1, v1, v11
	v_add_f32_e32 v1, v1, v3
	v_cvt_i32_f32_e32 v3, v11
	ds_read_b128 v[11:14], v129
	v_exp_f32_e32 v1, v1
	v_ldexp_f32 v1, v1, v3
	v_cndmask_b32_e32 v1, 0, v1, vcc_lo
	v_cmp_nlt_f32_e32 vcc_lo, 0x42b17218, v0
	v_cndmask_b32_e32 v0, 0x7f800000, v1, vcc_lo
	v_mul_f32_e32 v1, v0, v46
	ds_bpermute_b32 v1, v5, v1
	s_waitcnt lgkmcnt(0)
	v_fmac_f32_e32 v1, v0, v46
	v_cvt_f16_f32_e32 v0, v0
	ds_bpermute_b32 v3, v6, v1
	s_waitcnt lgkmcnt(0)
	v_add_f32_e32 v1, v1, v3
	ds_bpermute_b32 v3, v7, v1
	s_waitcnt lgkmcnt(0)
	v_add_f32_e32 v1, v1, v3
	;; [unrolled: 3-line block ×3, first 2 shown]
	v_mov_b32_e32 v1, 0x10001
	ds_bpermute_b32 v19, v8, v3
	v_mul_u32_u24_sdwa v0, v0, v1 dst_sel:DWORD dst_unused:UNUSED_PAD src0_sel:WORD_0 src1_sel:DWORD
	v_lshl_add_u32 v1, v38, 2, 0x900
	v_pk_mul_f16 v15, v11, v0
	v_pk_mul_f16 v16, v12, v0
	;; [unrolled: 1-line block ×4, first 2 shown]
	v_add_nc_u32_e32 v11, v39, v20
	ds_write_b128 v129, v[15:18]
	ds_write2_b64 v11, v[15:16], v[17:18] offset1:32
	s_waitcnt lgkmcnt(2)
	v_add_f32_e32 v3, v3, v19
	s_and_saveexec_b32 s1, s0
; %bb.57:
	ds_write_b32 v1, v3
; %bb.58:
	s_or_b32 exec_lo, exec_lo, s1
	s_waitcnt lgkmcnt(0)
	s_barrier
	buffer_gl0_inv
	ds_read_b32 v0, v4
	ds_read_u16 v3, v128
	ds_read_u16 v12, v128 offset:1280
	ds_read_u16 v13, v128 offset:768
	;; [unrolled: 1-line block ×6, first 2 shown]
	s_cmp_eq_u32 s3, 1
	s_mul_i32 s4, s33, s36
	s_cselect_b32 s1, -1, 0
	s_add_i32 s4, s4, s35
	s_mul_i32 s4, s4, s37
	s_add_i32 s4, s4, s38
	s_mul_i32 s5, s3, s4
	s_add_i32 s5, s5, s34
	s_waitcnt lgkmcnt(7)
	ds_bpermute_b32 v15, v5, v0
	s_waitcnt lgkmcnt(7)
	v_cvt_f32_f16_e32 v3, v3
	s_waitcnt lgkmcnt(6)
	v_cvt_f32_f16_e32 v12, v12
	;; [unrolled: 2-line block ×5, first 2 shown]
	v_add_f32_e32 v3, 0, v3
	v_cvt_f32_f16_e32 v14, v14
	v_add_f32_e32 v3, v3, v16
	ds_read_u16 v16, v128 offset:1792
	v_add_f32_e32 v3, v3, v17
	s_waitcnt lgkmcnt(1)
	v_add_f32_e32 v0, v0, v15
	v_add_f32_e32 v3, v3, v18
	ds_bpermute_b32 v15, v6, v0
	s_waitcnt lgkmcnt(0)
	v_add_f32_e32 v0, v0, v15
	ds_bpermute_b32 v15, v7, v0
	s_waitcnt lgkmcnt(0)
	;; [unrolled: 3-line block ×4, first 2 shown]
	v_add_f32_e32 v46, v0, v15
	v_cvt_f32_f16_e32 v0, v13
	v_add_f32_e32 v13, 0, v14
	v_cvt_f32_f16_e32 v15, v16
	v_div_scale_f32 v14, null, v46, v46, v3
	v_add_f32_e32 v0, v13, v0
	v_div_scale_f32 v16, vcc_lo, v3, v46, v3
	v_rcp_f32_e32 v13, v14
	v_add_f32_e32 v0, v0, v12
	v_add_f32_e32 v0, v0, v15
	v_fma_f32 v12, -v14, v13, 1.0
	v_div_scale_f32 v15, null, v46, v46, v0
	v_fmac_f32_e32 v13, v12, v13
	v_rcp_f32_e32 v17, v15
	v_mul_f32_e32 v12, v16, v13
	v_fma_f32 v18, -v14, v12, v16
	v_fma_f32 v19, -v15, v17, 1.0
	v_fmac_f32_e32 v12, v18, v13
	v_div_scale_f32 v18, s2, v0, v46, v0
	v_fmac_f32_e32 v17, v19, v17
	v_fma_f32 v14, -v14, v12, v16
	v_mul_f32_e32 v16, v18, v17
	v_div_fmas_f32 v12, v14, v13, v12
	s_mov_b32 vcc_lo, s2
	s_or_b32 s2, s35, 1
	v_fma_f32 v13, -v15, v16, v18
	s_cmp_ge_i32 s2, s36
	v_div_fixup_f32 v14, v12, v46, v3
	v_lshl_or_b32 v12, s5, 8, v35
	v_fmac_f32_e32 v16, v13, v17
	v_mov_b32_e32 v13, 0
	v_cndmask_b32_e64 v14, v3, v14, s1
	v_mov_b32_e32 v3, v117
	v_fma_f32 v15, -v15, v16, v18
	v_lshlrev_b64 v[12:13], 2, v[12:13]
	v_div_fmas_f32 v15, v15, v17, v16
	v_add_co_u32 v12, vcc_lo, s24, v12
	v_add_co_ci_u32_e64 v13, null, s25, v13, vcc_lo
	v_div_fixup_f32 v15, v15, v46, v0
	v_cndmask_b32_e64 v0, v0, v15, s1
	global_store_dword v[12:13], v14, off
	global_store_dword v[12:13], v0, off offset:512
	s_waitcnt_vscnt null, 0x0
	s_barrier
	buffer_gl0_inv
	s_cbranch_scc1 .LBB31_62
; %bb.59:
	ds_read_b32 v0, v10 offset:128
	v_mov_b32_e32 v17, 0x10001
	s_waitcnt lgkmcnt(0)
	ds_bpermute_b32 v3, v5, v0
	v_max_f32_e32 v0, v0, v0
	s_waitcnt lgkmcnt(0)
	v_max_f32_e32 v3, v3, v3
	v_max_f32_e32 v0, v0, v3
	ds_bpermute_b32 v3, v6, v0
	s_waitcnt lgkmcnt(0)
	v_max_f32_e32 v3, v3, v3
	v_max_f32_e32 v0, v0, v3
	ds_bpermute_b32 v3, v7, v0
	;; [unrolled: 4-line block ×4, first 2 shown]
	s_waitcnt lgkmcnt(0)
	v_max_f32_e32 v3, v3, v3
	v_max_f32_e32 v3, v0, v3
	v_sub_f32_e32 v0, v117, v3
	v_mul_f32_e32 v10, 0x3fb8aa3b, v0
	v_cmp_ngt_f32_e32 vcc_lo, 0xc2ce8ed0, v0
	v_fma_f32 v12, 0x3fb8aa3b, v0, -v10
	v_rndne_f32_e32 v13, v10
	v_fmamk_f32 v12, v0, 0x32a5705f, v12
	v_sub_f32_e32 v10, v10, v13
	v_add_f32_e32 v10, v10, v12
	v_cvt_i32_f32_e32 v12, v13
	v_exp_f32_e32 v10, v10
	v_ldexp_f32 v10, v10, v12
	v_cndmask_b32_e32 v10, 0, v10, vcc_lo
	v_cmp_nlt_f32_e32 vcc_lo, 0x42b17218, v0
	v_cndmask_b32_e32 v0, 0x7f800000, v10, vcc_lo
	v_mul_f32_e32 v10, v0, v47
	ds_bpermute_b32 v10, v5, v10
	s_waitcnt lgkmcnt(0)
	v_fmac_f32_e32 v10, v0, v47
	v_cvt_f16_f32_e32 v0, v0
	ds_bpermute_b32 v12, v6, v10
	v_mul_u32_u24_sdwa v0, v0, v17 dst_sel:DWORD dst_unused:UNUSED_PAD src0_sel:WORD_0 src1_sel:DWORD
	s_waitcnt lgkmcnt(0)
	v_add_f32_e32 v10, v10, v12
	ds_bpermute_b32 v12, v7, v10
	s_waitcnt lgkmcnt(0)
	v_add_f32_e32 v10, v10, v12
	ds_read_b128 v[12:15], v129 offset:16
	ds_bpermute_b32 v16, v9, v10
	s_waitcnt lgkmcnt(1)
	v_pk_mul_f16 v12, v12, v0
	v_pk_mul_f16 v13, v13, v0
	;; [unrolled: 1-line block ×4, first 2 shown]
	s_waitcnt lgkmcnt(0)
	v_add_f32_e32 v10, v10, v16
	ds_write_b128 v129, v[12:15] offset:16
	ds_write2_b64 v11, v[12:13], v[14:15] offset1:32
	ds_bpermute_b32 v16, v8, v10
	s_waitcnt lgkmcnt(0)
	v_add_f32_e32 v10, v10, v16
	s_and_saveexec_b32 s2, s0
; %bb.60:
	ds_write_b32 v1, v10 offset:128
; %bb.61:
	s_or_b32 exec_lo, exec_lo, s2
	s_waitcnt lgkmcnt(0)
	s_barrier
	buffer_gl0_inv
	ds_read_b32 v0, v4 offset:128
	ds_read_u16 v1, v128
	ds_read_u16 v4, v128 offset:1280
	ds_read_u16 v10, v128 offset:768
	;; [unrolled: 1-line block ×3, first 2 shown]
	s_add_i32 s4, s4, s37
	s_mul_i32 s2, s3, s4
	s_add_i32 s2, s2, s34
	s_waitcnt lgkmcnt(4)
	ds_bpermute_b32 v5, v5, v0
	s_waitcnt lgkmcnt(4)
	v_cvt_f32_f16_e32 v1, v1
	s_waitcnt lgkmcnt(3)
	v_cvt_f32_f16_e32 v4, v4
	s_waitcnt lgkmcnt(2)
	v_cvt_f32_f16_e32 v10, v10
	s_waitcnt lgkmcnt(1)
	v_cvt_f32_f16_e32 v11, v11
	v_add_f32_e32 v1, 0, v1
	v_add_f32_e32 v11, 0, v11
	s_waitcnt lgkmcnt(0)
	v_add_f32_e32 v0, v0, v5
	ds_bpermute_b32 v5, v6, v0
	s_waitcnt lgkmcnt(0)
	v_add_f32_e32 v0, v0, v5
	ds_bpermute_b32 v5, v7, v0
	;; [unrolled: 3-line block ×3, first 2 shown]
	ds_read_u16 v6, v128 offset:512
	ds_read_u16 v7, v128 offset:1024
	;; [unrolled: 1-line block ×3, first 2 shown]
	s_waitcnt lgkmcnt(2)
	v_cvt_f32_f16_e32 v6, v6
	v_add_f32_e32 v0, v0, v5
	ds_read_u16 v5, v128 offset:1792
	s_waitcnt lgkmcnt(2)
	v_cvt_f32_f16_e32 v7, v7
	s_waitcnt lgkmcnt(1)
	v_cvt_f32_f16_e32 v9, v9
	v_add_f32_e32 v1, v1, v6
	ds_bpermute_b32 v8, v8, v0
	v_add_f32_e32 v6, v11, v10
	v_add_f32_e32 v1, v1, v7
	;; [unrolled: 1-line block ×4, first 2 shown]
	s_waitcnt lgkmcnt(1)
	v_cvt_f32_f16_e32 v5, v5
	s_waitcnt lgkmcnt(0)
	v_add_f32_e32 v47, v0, v8
	v_add_f32_e32 v0, v4, v5
	v_div_scale_f32 v4, null, v47, v47, v1
	v_div_scale_f32 v6, null, v47, v47, v0
	v_div_scale_f32 v10, vcc_lo, v1, v47, v1
	v_rcp_f32_e32 v7, v4
	v_rcp_f32_e32 v8, v6
	v_div_scale_f32 v11, s0, v0, v47, v0
	v_fma_f32 v5, -v4, v7, 1.0
	v_fma_f32 v9, -v6, v8, 1.0
	v_fmac_f32_e32 v7, v5, v7
	v_fmac_f32_e32 v8, v9, v8
	v_mul_f32_e32 v9, v10, v7
	v_mul_f32_e32 v12, v11, v8
	v_fma_f32 v5, -v4, v9, v10
	v_fma_f32 v13, -v6, v12, v11
	v_fmac_f32_e32 v9, v5, v7
	v_fmac_f32_e32 v12, v13, v8
	v_mov_b32_e32 v5, 0
	v_fma_f32 v4, -v4, v9, v10
	v_fma_f32 v6, -v6, v12, v11
	v_div_fmas_f32 v7, v4, v7, v9
	v_lshl_or_b32 v4, s2, 8, v35
	s_mov_b32 vcc_lo, s0
	v_div_fmas_f32 v6, v6, v8, v12
	v_div_fixup_f32 v7, v7, v47, v1
	v_lshlrev_b64 v[4:5], 2, v[4:5]
	v_div_fixup_f32 v6, v6, v47, v0
	v_cndmask_b32_e64 v1, v1, v7, s1
	v_add_co_u32 v4, vcc_lo, s24, v4
	v_add_co_ci_u32_e64 v5, null, s25, v5, vcc_lo
	v_cndmask_b32_e64 v0, v0, v6, s1
	global_store_dword v[4:5], v1, off
	global_store_dword v[4:5], v0, off offset:512
.LBB31_62:
	v_mov_b32_e32 v117, v3
	v_mov_b32_e32 v116, v2
.LBB31_63:
	v_or_b32_e32 v0, s35, v41
	v_cmp_gt_u32_e32 vcc_lo, 2, v35
	s_waitcnt lgkmcnt(0)
	s_cmp_lg_u32 s3, 1
	s_cselect_b32 s1, -1, 0
	v_cmp_gt_i32_e64 s0, s36, v0
	s_and_b32 s1, s1, vcc_lo
	s_and_b32 s0, s1, s0
	s_and_saveexec_b32 s1, s0
	s_cbranch_execz .LBB31_65
; %bb.64:
	v_mad_u64_u32 v[0:1], null, s33, s36, v[0:1]
	v_cmp_eq_u32_e32 vcc_lo, 1, v35
	v_cndmask_b32_e32 v2, v116, v117, vcc_lo
	v_mad_u64_u32 v[0:1], null, v0, s37, s[38:39]
	v_cndmask_b32_e32 v3, v46, v47, vcc_lo
	v_mad_u64_u32 v[0:1], null, s3, v0, s[34:35]
	v_mov_b32_e32 v1, 0
	v_lshlrev_b64 v[0:1], 3, v[0:1]
	v_add_co_u32 v0, vcc_lo, s26, v0
	v_add_co_ci_u32_e64 v1, null, s27, v1, vcc_lo
	global_store_dwordx2 v[0:1], v[2:3], off
.LBB31_65:
	s_endpgm
	.section	.rodata,"a",@progbits
	.p2align	6, 0x0
	.amdhsa_kernel _ZL18flash_attn_ext_vecILi256ELi2EL9ggml_type7ELS0_8ELb1EEvPKcS2_S2_S2_S2_PKiPfP15HIP_vector_typeIfLj2EEffffjfiS6_IjLj3EEiiiiiiiiiiiliiliiiiil
		.amdhsa_group_segment_fixed_size 6656
		.amdhsa_private_segment_fixed_size 44
		.amdhsa_kernarg_size 464
		.amdhsa_user_sgpr_count 8
		.amdhsa_user_sgpr_private_segment_buffer 1
		.amdhsa_user_sgpr_dispatch_ptr 1
		.amdhsa_user_sgpr_queue_ptr 0
		.amdhsa_user_sgpr_kernarg_segment_ptr 1
		.amdhsa_user_sgpr_dispatch_id 0
		.amdhsa_user_sgpr_flat_scratch_init 0
		.amdhsa_user_sgpr_private_segment_size 0
		.amdhsa_wavefront_size32 1
		.amdhsa_uses_dynamic_stack 0
		.amdhsa_system_sgpr_private_segment_wavefront_offset 1
		.amdhsa_system_sgpr_workgroup_id_x 1
		.amdhsa_system_sgpr_workgroup_id_y 1
		.amdhsa_system_sgpr_workgroup_id_z 1
		.amdhsa_system_sgpr_workgroup_info 0
		.amdhsa_system_vgpr_workitem_id 2
		.amdhsa_next_free_vgpr 256
		.amdhsa_next_free_sgpr 60
		.amdhsa_reserve_vcc 1
		.amdhsa_reserve_flat_scratch 0
		.amdhsa_float_round_mode_32 0
		.amdhsa_float_round_mode_16_64 0
		.amdhsa_float_denorm_mode_32 3
		.amdhsa_float_denorm_mode_16_64 3
		.amdhsa_dx10_clamp 1
		.amdhsa_ieee_mode 1
		.amdhsa_fp16_overflow 0
		.amdhsa_workgroup_processor_mode 1
		.amdhsa_memory_ordered 1
		.amdhsa_forward_progress 1
		.amdhsa_shared_vgpr_count 0
		.amdhsa_exception_fp_ieee_invalid_op 0
		.amdhsa_exception_fp_denorm_src 0
		.amdhsa_exception_fp_ieee_div_zero 0
		.amdhsa_exception_fp_ieee_overflow 0
		.amdhsa_exception_fp_ieee_underflow 0
		.amdhsa_exception_fp_ieee_inexact 0
		.amdhsa_exception_int_div_zero 0
	.end_amdhsa_kernel
	.section	.text._ZL18flash_attn_ext_vecILi256ELi2EL9ggml_type7ELS0_8ELb1EEvPKcS2_S2_S2_S2_PKiPfP15HIP_vector_typeIfLj2EEffffjfiS6_IjLj3EEiiiiiiiiiiiliiliiiiil,"axG",@progbits,_ZL18flash_attn_ext_vecILi256ELi2EL9ggml_type7ELS0_8ELb1EEvPKcS2_S2_S2_S2_PKiPfP15HIP_vector_typeIfLj2EEffffjfiS6_IjLj3EEiiiiiiiiiiiliiliiiiil,comdat
.Lfunc_end31:
	.size	_ZL18flash_attn_ext_vecILi256ELi2EL9ggml_type7ELS0_8ELb1EEvPKcS2_S2_S2_S2_PKiPfP15HIP_vector_typeIfLj2EEffffjfiS6_IjLj3EEiiiiiiiiiiiliiliiiiil, .Lfunc_end31-_ZL18flash_attn_ext_vecILi256ELi2EL9ggml_type7ELS0_8ELb1EEvPKcS2_S2_S2_S2_PKiPfP15HIP_vector_typeIfLj2EEffffjfiS6_IjLj3EEiiiiiiiiiiiliiliiiiil
                                        ; -- End function
	.set _ZL18flash_attn_ext_vecILi256ELi2EL9ggml_type7ELS0_8ELb1EEvPKcS2_S2_S2_S2_PKiPfP15HIP_vector_typeIfLj2EEffffjfiS6_IjLj3EEiiiiiiiiiiiliiliiiiil.num_vgpr, 256
	.set _ZL18flash_attn_ext_vecILi256ELi2EL9ggml_type7ELS0_8ELb1EEvPKcS2_S2_S2_S2_PKiPfP15HIP_vector_typeIfLj2EEffffjfiS6_IjLj3EEiiiiiiiiiiiliiliiiiil.num_agpr, 0
	.set _ZL18flash_attn_ext_vecILi256ELi2EL9ggml_type7ELS0_8ELb1EEvPKcS2_S2_S2_S2_PKiPfP15HIP_vector_typeIfLj2EEffffjfiS6_IjLj3EEiiiiiiiiiiiliiliiiiil.numbered_sgpr, 60
	.set _ZL18flash_attn_ext_vecILi256ELi2EL9ggml_type7ELS0_8ELb1EEvPKcS2_S2_S2_S2_PKiPfP15HIP_vector_typeIfLj2EEffffjfiS6_IjLj3EEiiiiiiiiiiiliiliiiiil.num_named_barrier, 0
	.set _ZL18flash_attn_ext_vecILi256ELi2EL9ggml_type7ELS0_8ELb1EEvPKcS2_S2_S2_S2_PKiPfP15HIP_vector_typeIfLj2EEffffjfiS6_IjLj3EEiiiiiiiiiiiliiliiiiil.private_seg_size, 44
	.set _ZL18flash_attn_ext_vecILi256ELi2EL9ggml_type7ELS0_8ELb1EEvPKcS2_S2_S2_S2_PKiPfP15HIP_vector_typeIfLj2EEffffjfiS6_IjLj3EEiiiiiiiiiiiliiliiiiil.uses_vcc, 1
	.set _ZL18flash_attn_ext_vecILi256ELi2EL9ggml_type7ELS0_8ELb1EEvPKcS2_S2_S2_S2_PKiPfP15HIP_vector_typeIfLj2EEffffjfiS6_IjLj3EEiiiiiiiiiiiliiliiiiil.uses_flat_scratch, 0
	.set _ZL18flash_attn_ext_vecILi256ELi2EL9ggml_type7ELS0_8ELb1EEvPKcS2_S2_S2_S2_PKiPfP15HIP_vector_typeIfLj2EEffffjfiS6_IjLj3EEiiiiiiiiiiiliiliiiiil.has_dyn_sized_stack, 0
	.set _ZL18flash_attn_ext_vecILi256ELi2EL9ggml_type7ELS0_8ELb1EEvPKcS2_S2_S2_S2_PKiPfP15HIP_vector_typeIfLj2EEffffjfiS6_IjLj3EEiiiiiiiiiiiliiliiiiil.has_recursion, 0
	.set _ZL18flash_attn_ext_vecILi256ELi2EL9ggml_type7ELS0_8ELb1EEvPKcS2_S2_S2_S2_PKiPfP15HIP_vector_typeIfLj2EEffffjfiS6_IjLj3EEiiiiiiiiiiiliiliiiiil.has_indirect_call, 0
	.section	.AMDGPU.csdata,"",@progbits
; Kernel info:
; codeLenInByte = 32244
; TotalNumSgprs: 62
; NumVgprs: 256
; ScratchSize: 44
; MemoryBound: 0
; FloatMode: 240
; IeeeMode: 1
; LDSByteSize: 6656 bytes/workgroup (compile time only)
; SGPRBlocks: 0
; VGPRBlocks: 31
; NumSGPRsForWavesPerEU: 62
; NumVGPRsForWavesPerEU: 256
; Occupancy: 4
; WaveLimiterHint : 0
; COMPUTE_PGM_RSRC2:SCRATCH_EN: 1
; COMPUTE_PGM_RSRC2:USER_SGPR: 8
; COMPUTE_PGM_RSRC2:TRAP_HANDLER: 0
; COMPUTE_PGM_RSRC2:TGID_X_EN: 1
; COMPUTE_PGM_RSRC2:TGID_Y_EN: 1
; COMPUTE_PGM_RSRC2:TGID_Z_EN: 1
; COMPUTE_PGM_RSRC2:TIDIG_COMP_CNT: 2
	.text
	.p2alignl 6, 3214868480
	.fill 48, 4, 3214868480
	.section	.AMDGPU.gpr_maximums,"",@progbits
	.set amdgpu.max_num_vgpr, 40
	.set amdgpu.max_num_agpr, 0
	.set amdgpu.max_num_sgpr, 34
	.text
	.type	.str.3,@object                  ; @.str.3
	.section	.rodata.str1.1,"aMS",@progbits,1
.str.3:
	.asciz	"/root/src/amdgpu-assembly/repos/ggml-org__llama.cpp/ggml/src/ggml-cuda/template-instances/../fattn-vec.cuh"
	.size	.str.3, 107

	.type	__FUNCTION__._ZL18flash_attn_ext_vecILi64ELi1EL9ggml_type7ELS0_8ELb1EEvPKcS2_S2_S2_S2_PKiPfP15HIP_vector_typeIfLj2EEffffjfiS6_IjLj3EEiiiiiiiiiiiliiliiiiil,@object ; @__FUNCTION__._ZL18flash_attn_ext_vecILi64ELi1EL9ggml_type7ELS0_8ELb1EEvPKcS2_S2_S2_S2_PKiPfP15HIP_vector_typeIfLj2EEffffjfiS6_IjLj3EEiiiiiiiiiiiliiliiiiil
__FUNCTION__._ZL18flash_attn_ext_vecILi64ELi1EL9ggml_type7ELS0_8ELb1EEvPKcS2_S2_S2_S2_PKiPfP15HIP_vector_typeIfLj2EEffffjfiS6_IjLj3EEiiiiiiiiiiiliiliiiiil:
	.asciz	"flash_attn_ext_vec"
	.size	__FUNCTION__._ZL18flash_attn_ext_vecILi64ELi1EL9ggml_type7ELS0_8ELb1EEvPKcS2_S2_S2_S2_PKiPfP15HIP_vector_typeIfLj2EEffffjfiS6_IjLj3EEiiiiiiiiiiiliiliiiiil, 19

	.type	.str.5,@object                  ; @.str.5
.str.5:
	.asciz	"%s:%d: ERROR: HIP kernel %s has no device code compatible with HIP arch %d.\n"
	.size	.str.5, 77

	.type	__hip_cuid_5e9413702d1dcb34,@object ; @__hip_cuid_5e9413702d1dcb34
	.section	.bss,"aw",@nobits
	.globl	__hip_cuid_5e9413702d1dcb34
__hip_cuid_5e9413702d1dcb34:
	.byte	0                               ; 0x0
	.size	__hip_cuid_5e9413702d1dcb34, 1

	.ident	"AMD clang version 22.0.0git (https://github.com/RadeonOpenCompute/llvm-project roc-7.2.4 26084 f58b06dce1f9c15707c5f808fd002e18c2accf7e)"
	.section	".note.GNU-stack","",@progbits
	.addrsig
	.addrsig_sym __hip_cuid_5e9413702d1dcb34
	.amdgpu_metadata
---
amdhsa.kernels:
  - .args:
      - .address_space:  global
        .offset:         0
        .size:           8
        .value_kind:     global_buffer
      - .address_space:  global
        .offset:         8
        .size:           8
        .value_kind:     global_buffer
      - .address_space:  global
        .offset:         16
        .size:           8
        .value_kind:     global_buffer
      - .address_space:  global
        .offset:         24
        .size:           8
        .value_kind:     global_buffer
      - .address_space:  global
        .offset:         32
        .size:           8
        .value_kind:     global_buffer
      - .address_space:  global
        .offset:         40
        .size:           8
        .value_kind:     global_buffer
      - .address_space:  global
        .offset:         48
        .size:           8
        .value_kind:     global_buffer
      - .address_space:  global
        .offset:         56
        .size:           8
        .value_kind:     global_buffer
      - .offset:         64
        .size:           4
        .value_kind:     by_value
      - .offset:         68
        .size:           4
        .value_kind:     by_value
      - .offset:         72
        .size:           4
        .value_kind:     by_value
      - .offset:         76
        .size:           4
        .value_kind:     by_value
      - .offset:         80
        .size:           4
        .value_kind:     by_value
      - .offset:         84
        .size:           4
        .value_kind:     by_value
      - .offset:         88
        .size:           4
        .value_kind:     by_value
      - .offset:         92
        .size:           12
        .value_kind:     by_value
      - .offset:         104
        .size:           4
        .value_kind:     by_value
      - .offset:         108
        .size:           4
        .value_kind:     by_value
      - .offset:         112
        .size:           4
        .value_kind:     by_value
      - .offset:         116
        .size:           4
        .value_kind:     by_value
      - .offset:         120
        .size:           4
        .value_kind:     by_value
      - .offset:         124
        .size:           4
        .value_kind:     by_value
      - .offset:         128
        .size:           4
        .value_kind:     by_value
      - .offset:         132
        .size:           4
        .value_kind:     by_value
      - .offset:         136
        .size:           4
        .value_kind:     by_value
      - .offset:         140
        .size:           4
        .value_kind:     by_value
      - .offset:         144
        .size:           4
        .value_kind:     by_value
      - .offset:         152
        .size:           8
        .value_kind:     by_value
      - .offset:         160
        .size:           4
        .value_kind:     by_value
      - .offset:         164
        .size:           4
        .value_kind:     by_value
      - .offset:         168
        .size:           8
        .value_kind:     by_value
      - .offset:         176
        .size:           4
        .value_kind:     by_value
      - .offset:         180
        .size:           4
        .value_kind:     by_value
      - .offset:         184
        .size:           4
        .value_kind:     by_value
      - .offset:         188
        .size:           4
        .value_kind:     by_value
      - .offset:         192
        .size:           4
        .value_kind:     by_value
      - .offset:         200
        .size:           8
        .value_kind:     by_value
      - .offset:         208
        .size:           4
        .value_kind:     hidden_block_count_x
      - .offset:         212
        .size:           4
        .value_kind:     hidden_block_count_y
      - .offset:         216
        .size:           4
        .value_kind:     hidden_block_count_z
      - .offset:         220
        .size:           2
        .value_kind:     hidden_group_size_x
      - .offset:         222
        .size:           2
        .value_kind:     hidden_group_size_y
      - .offset:         224
        .size:           2
        .value_kind:     hidden_group_size_z
      - .offset:         226
        .size:           2
        .value_kind:     hidden_remainder_x
      - .offset:         228
        .size:           2
        .value_kind:     hidden_remainder_y
      - .offset:         230
        .size:           2
        .value_kind:     hidden_remainder_z
      - .offset:         248
        .size:           8
        .value_kind:     hidden_global_offset_x
      - .offset:         256
        .size:           8
        .value_kind:     hidden_global_offset_y
      - .offset:         264
        .size:           8
        .value_kind:     hidden_global_offset_z
      - .offset:         272
        .size:           2
        .value_kind:     hidden_grid_dims
    .group_segment_fixed_size: 1280
    .kernarg_segment_align: 8
    .kernarg_segment_size: 464
    .language:       OpenCL C
    .language_version:
      - 2
      - 0
    .max_flat_workgroup_size: 128
    .name:           _ZL18flash_attn_ext_vecILi64ELi1EL9ggml_type7ELS0_8ELb0EEvPKcS2_S2_S2_S2_PKiPfP15HIP_vector_typeIfLj2EEffffjfiS6_IjLj3EEiiiiiiiiiiiliiliiiiil
    .private_segment_fixed_size: 0
    .sgpr_count:     51
    .sgpr_spill_count: 0
    .symbol:         _ZL18flash_attn_ext_vecILi64ELi1EL9ggml_type7ELS0_8ELb0EEvPKcS2_S2_S2_S2_PKiPfP15HIP_vector_typeIfLj2EEffffjfiS6_IjLj3EEiiiiiiiiiiiliiliiiiil.kd
    .uniform_work_group_size: 1
    .uses_dynamic_stack: false
    .vgpr_count:     151
    .vgpr_spill_count: 0
    .wavefront_size: 32
    .workgroup_processor_mode: 1
  - .args:
      - .actual_access:  read_only
        .address_space:  global
        .offset:         0
        .size:           8
        .value_kind:     global_buffer
      - .actual_access:  write_only
        .address_space:  global
        .offset:         8
        .size:           8
        .value_kind:     global_buffer
      - .offset:         16
        .size:           4
        .value_kind:     by_value
      - .offset:         20
        .size:           4
        .value_kind:     by_value
      - .offset:         24
        .size:           4
        .value_kind:     by_value
      - .offset:         32
        .size:           4
        .value_kind:     hidden_block_count_x
      - .offset:         36
        .size:           4
        .value_kind:     hidden_block_count_y
      - .offset:         40
        .size:           4
        .value_kind:     hidden_block_count_z
      - .offset:         44
        .size:           2
        .value_kind:     hidden_group_size_x
      - .offset:         46
        .size:           2
        .value_kind:     hidden_group_size_y
      - .offset:         48
        .size:           2
        .value_kind:     hidden_group_size_z
      - .offset:         50
        .size:           2
        .value_kind:     hidden_remainder_x
      - .offset:         52
        .size:           2
        .value_kind:     hidden_remainder_y
      - .offset:         54
        .size:           2
        .value_kind:     hidden_remainder_z
      - .offset:         72
        .size:           8
        .value_kind:     hidden_global_offset_x
      - .offset:         80
        .size:           8
        .value_kind:     hidden_global_offset_y
      - .offset:         88
        .size:           8
        .value_kind:     hidden_global_offset_z
      - .offset:         96
        .size:           2
        .value_kind:     hidden_grid_dims
    .group_segment_fixed_size: 128
    .kernarg_segment_align: 8
    .kernarg_segment_size: 288
    .language:       OpenCL C
    .language_version:
      - 2
      - 0
    .max_flat_workgroup_size: 128
    .name:           _ZL25flash_attn_mask_to_KV_maxILi1EEvPK7__half2Piiii
    .private_segment_fixed_size: 0
    .sgpr_count:     18
    .sgpr_spill_count: 0
    .symbol:         _ZL25flash_attn_mask_to_KV_maxILi1EEvPK7__half2Piiii.kd
    .uniform_work_group_size: 1
    .uses_dynamic_stack: false
    .vgpr_count:     8
    .vgpr_spill_count: 0
    .wavefront_size: 32
    .workgroup_processor_mode: 1
  - .args:
      - .address_space:  global
        .offset:         0
        .size:           8
        .value_kind:     global_buffer
      - .address_space:  global
        .offset:         8
        .size:           8
        .value_kind:     global_buffer
      - .offset:         16
        .size:           4
        .value_kind:     by_value
      - .offset:         20
        .size:           4
        .value_kind:     by_value
      - .offset:         24
        .size:           4
        .value_kind:     by_value
      - .offset:         28
        .size:           4
        .value_kind:     by_value
      - .offset:         32
        .size:           4
        .value_kind:     by_value
      - .offset:         36
        .size:           4
        .value_kind:     by_value
      - .offset:         40
        .size:           12
        .value_kind:     by_value
      - .offset:         52
        .size:           12
        .value_kind:     by_value
      - .offset:         64
        .size:           12
        .value_kind:     by_value
    .group_segment_fixed_size: 0
    .kernarg_segment_align: 8
    .kernarg_segment_size: 76
    .language:       OpenCL C
    .language_version:
      - 2
      - 0
    .max_flat_workgroup_size: 64
    .name:           _ZL33flash_attn_stream_k_fixup_uniformILi64ELi1ELi1EEvPfPK15HIP_vector_typeIfLj2EEiiiiiiS1_IjLj3EES5_S5_
    .private_segment_fixed_size: 0
    .sgpr_count:     22
    .sgpr_spill_count: 0
    .symbol:         _ZL33flash_attn_stream_k_fixup_uniformILi64ELi1ELi1EEvPfPK15HIP_vector_typeIfLj2EEiiiiiiS1_IjLj3EES5_S5_.kd
    .uniform_work_group_size: 1
    .uses_dynamic_stack: false
    .vgpr_count:     15
    .vgpr_spill_count: 0
    .wavefront_size: 32
    .workgroup_processor_mode: 1
  - .args:
      - .address_space:  global
        .offset:         0
        .size:           8
        .value_kind:     global_buffer
      - .address_space:  global
        .offset:         8
        .size:           8
        .value_kind:     global_buffer
      - .offset:         16
        .size:           4
        .value_kind:     by_value
      - .offset:         20
        .size:           4
        .value_kind:     by_value
      - .offset:         24
        .size:           4
        .value_kind:     by_value
      - .offset:         28
        .size:           4
        .value_kind:     by_value
      - .offset:         32
        .size:           12
        .value_kind:     by_value
      - .offset:         44
        .size:           12
        .value_kind:     by_value
      - .offset:         56
        .size:           12
        .value_kind:     by_value
      - .offset:         68
        .size:           12
        .value_kind:     by_value
      - .offset:         80
        .size:           4
        .value_kind:     hidden_block_count_x
      - .offset:         84
        .size:           4
        .value_kind:     hidden_block_count_y
      - .offset:         88
        .size:           4
        .value_kind:     hidden_block_count_z
      - .offset:         92
        .size:           2
        .value_kind:     hidden_group_size_x
      - .offset:         94
        .size:           2
        .value_kind:     hidden_group_size_y
      - .offset:         96
        .size:           2
        .value_kind:     hidden_group_size_z
      - .offset:         98
        .size:           2
        .value_kind:     hidden_remainder_x
      - .offset:         100
        .size:           2
        .value_kind:     hidden_remainder_y
      - .offset:         102
        .size:           2
        .value_kind:     hidden_remainder_z
      - .offset:         120
        .size:           8
        .value_kind:     hidden_global_offset_x
      - .offset:         128
        .size:           8
        .value_kind:     hidden_global_offset_y
      - .offset:         136
        .size:           8
        .value_kind:     hidden_global_offset_z
      - .offset:         144
        .size:           2
        .value_kind:     hidden_grid_dims
    .group_segment_fixed_size: 0
    .kernarg_segment_align: 8
    .kernarg_segment_size: 336
    .language:       OpenCL C
    .language_version:
      - 2
      - 0
    .max_flat_workgroup_size: 64
    .name:           _ZL33flash_attn_stream_k_fixup_generalILi64ELi1ELi1EEvPfPK15HIP_vector_typeIfLj2EEiiiiS1_IjLj3EES5_S5_S5_
    .private_segment_fixed_size: 0
    .sgpr_count:     33
    .sgpr_spill_count: 0
    .symbol:         _ZL33flash_attn_stream_k_fixup_generalILi64ELi1ELi1EEvPfPK15HIP_vector_typeIfLj2EEiiiiS1_IjLj3EES5_S5_S5_.kd
    .uniform_work_group_size: 1
    .uses_dynamic_stack: false
    .vgpr_count:     17
    .vgpr_spill_count: 0
    .wavefront_size: 32
    .workgroup_processor_mode: 1
  - .args:
      - .address_space:  global
        .offset:         0
        .size:           8
        .value_kind:     global_buffer
      - .address_space:  global
        .offset:         8
        .size:           8
        .value_kind:     global_buffer
      - .address_space:  global
        .offset:         16
        .size:           8
        .value_kind:     global_buffer
      - .offset:         24
        .size:           4
        .value_kind:     by_value
      - .offset:         32
        .size:           4
        .value_kind:     hidden_block_count_x
      - .offset:         36
        .size:           4
        .value_kind:     hidden_block_count_y
      - .offset:         40
        .size:           4
        .value_kind:     hidden_block_count_z
      - .offset:         44
        .size:           2
        .value_kind:     hidden_group_size_x
      - .offset:         46
        .size:           2
        .value_kind:     hidden_group_size_y
      - .offset:         48
        .size:           2
        .value_kind:     hidden_group_size_z
      - .offset:         50
        .size:           2
        .value_kind:     hidden_remainder_x
      - .offset:         52
        .size:           2
        .value_kind:     hidden_remainder_y
      - .offset:         54
        .size:           2
        .value_kind:     hidden_remainder_z
      - .offset:         72
        .size:           8
        .value_kind:     hidden_global_offset_x
      - .offset:         80
        .size:           8
        .value_kind:     hidden_global_offset_y
      - .offset:         88
        .size:           8
        .value_kind:     hidden_global_offset_z
      - .offset:         96
        .size:           2
        .value_kind:     hidden_grid_dims
      - .offset:         152
        .size:           4
        .value_kind:     hidden_dynamic_lds_size
    .group_segment_fixed_size: 0
    .kernarg_segment_align: 8
    .kernarg_segment_size: 288
    .language:       OpenCL C
    .language_version:
      - 2
      - 0
    .max_flat_workgroup_size: 64
    .name:           _ZL26flash_attn_combine_resultsILi64EEvPKfPK15HIP_vector_typeIfLj2EEPfi
    .private_segment_fixed_size: 0
    .sgpr_count:     20
    .sgpr_spill_count: 0
    .symbol:         _ZL26flash_attn_combine_resultsILi64EEvPKfPK15HIP_vector_typeIfLj2EEPfi.kd
    .uniform_work_group_size: 1
    .uses_dynamic_stack: false
    .vgpr_count:     52
    .vgpr_spill_count: 0
    .wavefront_size: 32
    .workgroup_processor_mode: 1
  - .args:
      - .address_space:  global
        .offset:         0
        .size:           8
        .value_kind:     global_buffer
      - .address_space:  global
        .offset:         8
        .size:           8
        .value_kind:     global_buffer
      - .address_space:  global
        .offset:         16
        .size:           8
        .value_kind:     global_buffer
      - .address_space:  global
        .offset:         24
        .size:           8
        .value_kind:     global_buffer
      - .address_space:  global
        .offset:         32
        .size:           8
        .value_kind:     global_buffer
      - .address_space:  global
        .offset:         40
        .size:           8
        .value_kind:     global_buffer
      - .address_space:  global
        .offset:         48
        .size:           8
        .value_kind:     global_buffer
      - .address_space:  global
        .offset:         56
        .size:           8
        .value_kind:     global_buffer
      - .offset:         64
        .size:           4
        .value_kind:     by_value
      - .offset:         68
        .size:           4
        .value_kind:     by_value
      - .offset:         72
        .size:           4
        .value_kind:     by_value
      - .offset:         76
        .size:           4
        .value_kind:     by_value
      - .offset:         80
        .size:           4
        .value_kind:     by_value
      - .offset:         84
        .size:           4
        .value_kind:     by_value
      - .offset:         88
        .size:           4
        .value_kind:     by_value
      - .offset:         92
        .size:           12
        .value_kind:     by_value
      - .offset:         104
        .size:           4
        .value_kind:     by_value
      - .offset:         108
        .size:           4
        .value_kind:     by_value
      - .offset:         112
        .size:           4
        .value_kind:     by_value
      - .offset:         116
        .size:           4
        .value_kind:     by_value
      - .offset:         120
        .size:           4
        .value_kind:     by_value
      - .offset:         124
        .size:           4
        .value_kind:     by_value
      - .offset:         128
        .size:           4
        .value_kind:     by_value
      - .offset:         132
        .size:           4
        .value_kind:     by_value
      - .offset:         136
        .size:           4
        .value_kind:     by_value
      - .offset:         140
        .size:           4
        .value_kind:     by_value
      - .offset:         144
        .size:           4
        .value_kind:     by_value
      - .offset:         152
        .size:           8
        .value_kind:     by_value
      - .offset:         160
        .size:           4
        .value_kind:     by_value
      - .offset:         164
        .size:           4
        .value_kind:     by_value
      - .offset:         168
        .size:           8
        .value_kind:     by_value
      - .offset:         176
        .size:           4
        .value_kind:     by_value
      - .offset:         180
        .size:           4
        .value_kind:     by_value
      - .offset:         184
        .size:           4
        .value_kind:     by_value
      - .offset:         188
        .size:           4
        .value_kind:     by_value
      - .offset:         192
        .size:           4
        .value_kind:     by_value
      - .offset:         200
        .size:           8
        .value_kind:     by_value
      - .offset:         208
        .size:           4
        .value_kind:     hidden_block_count_x
      - .offset:         212
        .size:           4
        .value_kind:     hidden_block_count_y
      - .offset:         216
        .size:           4
        .value_kind:     hidden_block_count_z
      - .offset:         220
        .size:           2
        .value_kind:     hidden_group_size_x
      - .offset:         222
        .size:           2
        .value_kind:     hidden_group_size_y
      - .offset:         224
        .size:           2
        .value_kind:     hidden_group_size_z
      - .offset:         226
        .size:           2
        .value_kind:     hidden_remainder_x
      - .offset:         228
        .size:           2
        .value_kind:     hidden_remainder_y
      - .offset:         230
        .size:           2
        .value_kind:     hidden_remainder_z
      - .offset:         248
        .size:           8
        .value_kind:     hidden_global_offset_x
      - .offset:         256
        .size:           8
        .value_kind:     hidden_global_offset_y
      - .offset:         264
        .size:           8
        .value_kind:     hidden_global_offset_z
      - .offset:         272
        .size:           2
        .value_kind:     hidden_grid_dims
      - .offset:         288
        .size:           8
        .value_kind:     hidden_hostcall_buffer
    .group_segment_fixed_size: 0
    .kernarg_segment_align: 8
    .kernarg_segment_size: 464
    .language:       OpenCL C
    .language_version:
      - 2
      - 0
    .max_flat_workgroup_size: 128
    .name:           _ZL18flash_attn_ext_vecILi64ELi1EL9ggml_type7ELS0_8ELb1EEvPKcS2_S2_S2_S2_PKiPfP15HIP_vector_typeIfLj2EEffffjfiS6_IjLj3EEiiiiiiiiiiiliiliiiiil
    .private_segment_fixed_size: 16
    .sgpr_count:     36
    .sgpr_spill_count: 0
    .symbol:         _ZL18flash_attn_ext_vecILi64ELi1EL9ggml_type7ELS0_8ELb1EEvPKcS2_S2_S2_S2_PKiPfP15HIP_vector_typeIfLj2EEffffjfiS6_IjLj3EEiiiiiiiiiiiliiliiiiil.kd
    .uniform_work_group_size: 1
    .uses_dynamic_stack: false
    .vgpr_count:     40
    .vgpr_spill_count: 0
    .wavefront_size: 32
    .workgroup_processor_mode: 1
  - .args:
      - .address_space:  global
        .offset:         0
        .size:           8
        .value_kind:     global_buffer
      - .address_space:  global
        .offset:         8
        .size:           8
        .value_kind:     global_buffer
      - .address_space:  global
        .offset:         16
        .size:           8
        .value_kind:     global_buffer
      - .address_space:  global
        .offset:         24
        .size:           8
        .value_kind:     global_buffer
      - .address_space:  global
        .offset:         32
        .size:           8
        .value_kind:     global_buffer
      - .address_space:  global
        .offset:         40
        .size:           8
        .value_kind:     global_buffer
      - .address_space:  global
        .offset:         48
        .size:           8
        .value_kind:     global_buffer
      - .address_space:  global
        .offset:         56
        .size:           8
        .value_kind:     global_buffer
      - .offset:         64
        .size:           4
        .value_kind:     by_value
      - .offset:         68
        .size:           4
        .value_kind:     by_value
      - .offset:         72
        .size:           4
        .value_kind:     by_value
      - .offset:         76
        .size:           4
        .value_kind:     by_value
      - .offset:         80
        .size:           4
        .value_kind:     by_value
      - .offset:         84
        .size:           4
        .value_kind:     by_value
      - .offset:         88
        .size:           4
        .value_kind:     by_value
      - .offset:         92
        .size:           12
        .value_kind:     by_value
      - .offset:         104
        .size:           4
        .value_kind:     by_value
      - .offset:         108
        .size:           4
        .value_kind:     by_value
      - .offset:         112
        .size:           4
        .value_kind:     by_value
      - .offset:         116
        .size:           4
        .value_kind:     by_value
      - .offset:         120
        .size:           4
        .value_kind:     by_value
      - .offset:         124
        .size:           4
        .value_kind:     by_value
      - .offset:         128
        .size:           4
        .value_kind:     by_value
      - .offset:         132
        .size:           4
        .value_kind:     by_value
      - .offset:         136
        .size:           4
        .value_kind:     by_value
      - .offset:         140
        .size:           4
        .value_kind:     by_value
      - .offset:         144
        .size:           4
        .value_kind:     by_value
      - .offset:         152
        .size:           8
        .value_kind:     by_value
      - .offset:         160
        .size:           4
        .value_kind:     by_value
      - .offset:         164
        .size:           4
        .value_kind:     by_value
      - .offset:         168
        .size:           8
        .value_kind:     by_value
      - .offset:         176
        .size:           4
        .value_kind:     by_value
      - .offset:         180
        .size:           4
        .value_kind:     by_value
      - .offset:         184
        .size:           4
        .value_kind:     by_value
      - .offset:         188
        .size:           4
        .value_kind:     by_value
      - .offset:         192
        .size:           4
        .value_kind:     by_value
      - .offset:         200
        .size:           8
        .value_kind:     by_value
      - .offset:         208
        .size:           4
        .value_kind:     hidden_block_count_x
      - .offset:         212
        .size:           4
        .value_kind:     hidden_block_count_y
      - .offset:         216
        .size:           4
        .value_kind:     hidden_block_count_z
      - .offset:         220
        .size:           2
        .value_kind:     hidden_group_size_x
      - .offset:         222
        .size:           2
        .value_kind:     hidden_group_size_y
      - .offset:         224
        .size:           2
        .value_kind:     hidden_group_size_z
      - .offset:         226
        .size:           2
        .value_kind:     hidden_remainder_x
      - .offset:         228
        .size:           2
        .value_kind:     hidden_remainder_y
      - .offset:         230
        .size:           2
        .value_kind:     hidden_remainder_z
      - .offset:         248
        .size:           8
        .value_kind:     hidden_global_offset_x
      - .offset:         256
        .size:           8
        .value_kind:     hidden_global_offset_y
      - .offset:         264
        .size:           8
        .value_kind:     hidden_global_offset_z
      - .offset:         272
        .size:           2
        .value_kind:     hidden_grid_dims
    .group_segment_fixed_size: 3584
    .kernarg_segment_align: 8
    .kernarg_segment_size: 464
    .language:       OpenCL C
    .language_version:
      - 2
      - 0
    .max_flat_workgroup_size: 128
    .name:           _ZL18flash_attn_ext_vecILi64ELi2EL9ggml_type7ELS0_8ELb0EEvPKcS2_S2_S2_S2_PKiPfP15HIP_vector_typeIfLj2EEffffjfiS6_IjLj3EEiiiiiiiiiiiliiliiiiil
    .private_segment_fixed_size: 0
    .sgpr_count:     52
    .sgpr_spill_count: 0
    .symbol:         _ZL18flash_attn_ext_vecILi64ELi2EL9ggml_type7ELS0_8ELb0EEvPKcS2_S2_S2_S2_PKiPfP15HIP_vector_typeIfLj2EEffffjfiS6_IjLj3EEiiiiiiiiiiiliiliiiiil.kd
    .uniform_work_group_size: 1
    .uses_dynamic_stack: false
    .vgpr_count:     151
    .vgpr_spill_count: 0
    .wavefront_size: 32
    .workgroup_processor_mode: 1
  - .args:
      - .actual_access:  read_only
        .address_space:  global
        .offset:         0
        .size:           8
        .value_kind:     global_buffer
      - .actual_access:  write_only
        .address_space:  global
        .offset:         8
        .size:           8
        .value_kind:     global_buffer
      - .offset:         16
        .size:           4
        .value_kind:     by_value
      - .offset:         20
        .size:           4
        .value_kind:     by_value
      - .offset:         24
        .size:           4
        .value_kind:     by_value
      - .offset:         32
        .size:           4
        .value_kind:     hidden_block_count_x
      - .offset:         36
        .size:           4
        .value_kind:     hidden_block_count_y
      - .offset:         40
        .size:           4
        .value_kind:     hidden_block_count_z
      - .offset:         44
        .size:           2
        .value_kind:     hidden_group_size_x
      - .offset:         46
        .size:           2
        .value_kind:     hidden_group_size_y
      - .offset:         48
        .size:           2
        .value_kind:     hidden_group_size_z
      - .offset:         50
        .size:           2
        .value_kind:     hidden_remainder_x
      - .offset:         52
        .size:           2
        .value_kind:     hidden_remainder_y
      - .offset:         54
        .size:           2
        .value_kind:     hidden_remainder_z
      - .offset:         72
        .size:           8
        .value_kind:     hidden_global_offset_x
      - .offset:         80
        .size:           8
        .value_kind:     hidden_global_offset_y
      - .offset:         88
        .size:           8
        .value_kind:     hidden_global_offset_z
      - .offset:         96
        .size:           2
        .value_kind:     hidden_grid_dims
    .group_segment_fixed_size: 128
    .kernarg_segment_align: 8
    .kernarg_segment_size: 288
    .language:       OpenCL C
    .language_version:
      - 2
      - 0
    .max_flat_workgroup_size: 128
    .name:           _ZL25flash_attn_mask_to_KV_maxILi2EEvPK7__half2Piiii
    .private_segment_fixed_size: 0
    .sgpr_count:     18
    .sgpr_spill_count: 0
    .symbol:         _ZL25flash_attn_mask_to_KV_maxILi2EEvPK7__half2Piiii.kd
    .uniform_work_group_size: 1
    .uses_dynamic_stack: false
    .vgpr_count:     8
    .vgpr_spill_count: 0
    .wavefront_size: 32
    .workgroup_processor_mode: 1
  - .args:
      - .address_space:  global
        .offset:         0
        .size:           8
        .value_kind:     global_buffer
      - .address_space:  global
        .offset:         8
        .size:           8
        .value_kind:     global_buffer
      - .offset:         16
        .size:           4
        .value_kind:     by_value
      - .offset:         20
        .size:           4
        .value_kind:     by_value
      - .offset:         24
        .size:           4
        .value_kind:     by_value
      - .offset:         28
        .size:           4
        .value_kind:     by_value
      - .offset:         32
        .size:           4
        .value_kind:     by_value
      - .offset:         36
        .size:           4
        .value_kind:     by_value
      - .offset:         40
        .size:           12
        .value_kind:     by_value
      - .offset:         52
        .size:           12
        .value_kind:     by_value
      - .offset:         64
        .size:           12
        .value_kind:     by_value
    .group_segment_fixed_size: 0
    .kernarg_segment_align: 8
    .kernarg_segment_size: 76
    .language:       OpenCL C
    .language_version:
      - 2
      - 0
    .max_flat_workgroup_size: 64
    .name:           _ZL33flash_attn_stream_k_fixup_uniformILi64ELi2ELi1EEvPfPK15HIP_vector_typeIfLj2EEiiiiiiS1_IjLj3EES5_S5_
    .private_segment_fixed_size: 0
    .sgpr_count:     26
    .sgpr_spill_count: 0
    .symbol:         _ZL33flash_attn_stream_k_fixup_uniformILi64ELi2ELi1EEvPfPK15HIP_vector_typeIfLj2EEiiiiiiS1_IjLj3EES5_S5_.kd
    .uniform_work_group_size: 1
    .uses_dynamic_stack: false
    .vgpr_count:     15
    .vgpr_spill_count: 0
    .wavefront_size: 32
    .workgroup_processor_mode: 1
  - .args:
      - .address_space:  global
        .offset:         0
        .size:           8
        .value_kind:     global_buffer
      - .address_space:  global
        .offset:         8
        .size:           8
        .value_kind:     global_buffer
      - .offset:         16
        .size:           4
        .value_kind:     by_value
      - .offset:         20
        .size:           4
        .value_kind:     by_value
      - .offset:         24
        .size:           4
        .value_kind:     by_value
      - .offset:         28
        .size:           4
        .value_kind:     by_value
      - .offset:         32
        .size:           12
        .value_kind:     by_value
      - .offset:         44
        .size:           12
        .value_kind:     by_value
      - .offset:         56
        .size:           12
        .value_kind:     by_value
      - .offset:         68
        .size:           12
        .value_kind:     by_value
      - .offset:         80
        .size:           4
        .value_kind:     hidden_block_count_x
      - .offset:         84
        .size:           4
        .value_kind:     hidden_block_count_y
      - .offset:         88
        .size:           4
        .value_kind:     hidden_block_count_z
      - .offset:         92
        .size:           2
        .value_kind:     hidden_group_size_x
      - .offset:         94
        .size:           2
        .value_kind:     hidden_group_size_y
      - .offset:         96
        .size:           2
        .value_kind:     hidden_group_size_z
      - .offset:         98
        .size:           2
        .value_kind:     hidden_remainder_x
      - .offset:         100
        .size:           2
        .value_kind:     hidden_remainder_y
      - .offset:         102
        .size:           2
        .value_kind:     hidden_remainder_z
      - .offset:         120
        .size:           8
        .value_kind:     hidden_global_offset_x
      - .offset:         128
        .size:           8
        .value_kind:     hidden_global_offset_y
      - .offset:         136
        .size:           8
        .value_kind:     hidden_global_offset_z
      - .offset:         144
        .size:           2
        .value_kind:     hidden_grid_dims
    .group_segment_fixed_size: 0
    .kernarg_segment_align: 8
    .kernarg_segment_size: 336
    .language:       OpenCL C
    .language_version:
      - 2
      - 0
    .max_flat_workgroup_size: 64
    .name:           _ZL33flash_attn_stream_k_fixup_generalILi64ELi2ELi1EEvPfPK15HIP_vector_typeIfLj2EEiiiiS1_IjLj3EES5_S5_S5_
    .private_segment_fixed_size: 0
    .sgpr_count:     33
    .sgpr_spill_count: 0
    .symbol:         _ZL33flash_attn_stream_k_fixup_generalILi64ELi2ELi1EEvPfPK15HIP_vector_typeIfLj2EEiiiiS1_IjLj3EES5_S5_S5_.kd
    .uniform_work_group_size: 1
    .uses_dynamic_stack: false
    .vgpr_count:     17
    .vgpr_spill_count: 0
    .wavefront_size: 32
    .workgroup_processor_mode: 1
  - .args:
      - .address_space:  global
        .offset:         0
        .size:           8
        .value_kind:     global_buffer
      - .address_space:  global
        .offset:         8
        .size:           8
        .value_kind:     global_buffer
      - .address_space:  global
        .offset:         16
        .size:           8
        .value_kind:     global_buffer
      - .address_space:  global
        .offset:         24
        .size:           8
        .value_kind:     global_buffer
      - .address_space:  global
        .offset:         32
        .size:           8
        .value_kind:     global_buffer
      - .address_space:  global
        .offset:         40
        .size:           8
        .value_kind:     global_buffer
      - .address_space:  global
        .offset:         48
        .size:           8
        .value_kind:     global_buffer
      - .address_space:  global
        .offset:         56
        .size:           8
        .value_kind:     global_buffer
      - .offset:         64
        .size:           4
        .value_kind:     by_value
      - .offset:         68
        .size:           4
        .value_kind:     by_value
      - .offset:         72
        .size:           4
        .value_kind:     by_value
      - .offset:         76
        .size:           4
        .value_kind:     by_value
      - .offset:         80
        .size:           4
        .value_kind:     by_value
      - .offset:         84
        .size:           4
        .value_kind:     by_value
      - .offset:         88
        .size:           4
        .value_kind:     by_value
      - .offset:         92
        .size:           12
        .value_kind:     by_value
      - .offset:         104
        .size:           4
        .value_kind:     by_value
      - .offset:         108
        .size:           4
        .value_kind:     by_value
      - .offset:         112
        .size:           4
        .value_kind:     by_value
      - .offset:         116
        .size:           4
        .value_kind:     by_value
      - .offset:         120
        .size:           4
        .value_kind:     by_value
      - .offset:         124
        .size:           4
        .value_kind:     by_value
      - .offset:         128
        .size:           4
        .value_kind:     by_value
      - .offset:         132
        .size:           4
        .value_kind:     by_value
      - .offset:         136
        .size:           4
        .value_kind:     by_value
      - .offset:         140
        .size:           4
        .value_kind:     by_value
      - .offset:         144
        .size:           4
        .value_kind:     by_value
      - .offset:         152
        .size:           8
        .value_kind:     by_value
      - .offset:         160
        .size:           4
        .value_kind:     by_value
      - .offset:         164
        .size:           4
        .value_kind:     by_value
      - .offset:         168
        .size:           8
        .value_kind:     by_value
      - .offset:         176
        .size:           4
        .value_kind:     by_value
      - .offset:         180
        .size:           4
        .value_kind:     by_value
      - .offset:         184
        .size:           4
        .value_kind:     by_value
      - .offset:         188
        .size:           4
        .value_kind:     by_value
      - .offset:         192
        .size:           4
        .value_kind:     by_value
      - .offset:         200
        .size:           8
        .value_kind:     by_value
      - .offset:         208
        .size:           4
        .value_kind:     hidden_block_count_x
      - .offset:         212
        .size:           4
        .value_kind:     hidden_block_count_y
      - .offset:         216
        .size:           4
        .value_kind:     hidden_block_count_z
      - .offset:         220
        .size:           2
        .value_kind:     hidden_group_size_x
      - .offset:         222
        .size:           2
        .value_kind:     hidden_group_size_y
      - .offset:         224
        .size:           2
        .value_kind:     hidden_group_size_z
      - .offset:         226
        .size:           2
        .value_kind:     hidden_remainder_x
      - .offset:         228
        .size:           2
        .value_kind:     hidden_remainder_y
      - .offset:         230
        .size:           2
        .value_kind:     hidden_remainder_z
      - .offset:         248
        .size:           8
        .value_kind:     hidden_global_offset_x
      - .offset:         256
        .size:           8
        .value_kind:     hidden_global_offset_y
      - .offset:         264
        .size:           8
        .value_kind:     hidden_global_offset_z
      - .offset:         272
        .size:           2
        .value_kind:     hidden_grid_dims
      - .offset:         288
        .size:           8
        .value_kind:     hidden_hostcall_buffer
    .group_segment_fixed_size: 0
    .kernarg_segment_align: 8
    .kernarg_segment_size: 464
    .language:       OpenCL C
    .language_version:
      - 2
      - 0
    .max_flat_workgroup_size: 128
    .name:           _ZL18flash_attn_ext_vecILi64ELi2EL9ggml_type7ELS0_8ELb1EEvPKcS2_S2_S2_S2_PKiPfP15HIP_vector_typeIfLj2EEffffjfiS6_IjLj3EEiiiiiiiiiiiliiliiiiil
    .private_segment_fixed_size: 16
    .sgpr_count:     36
    .sgpr_spill_count: 0
    .symbol:         _ZL18flash_attn_ext_vecILi64ELi2EL9ggml_type7ELS0_8ELb1EEvPKcS2_S2_S2_S2_PKiPfP15HIP_vector_typeIfLj2EEffffjfiS6_IjLj3EEiiiiiiiiiiiliiliiiiil.kd
    .uniform_work_group_size: 1
    .uses_dynamic_stack: false
    .vgpr_count:     40
    .vgpr_spill_count: 0
    .wavefront_size: 32
    .workgroup_processor_mode: 1
  - .args:
      - .address_space:  global
        .offset:         0
        .size:           8
        .value_kind:     global_buffer
      - .address_space:  global
        .offset:         8
        .size:           8
        .value_kind:     global_buffer
      - .address_space:  global
        .offset:         16
        .size:           8
        .value_kind:     global_buffer
      - .address_space:  global
        .offset:         24
        .size:           8
        .value_kind:     global_buffer
      - .address_space:  global
        .offset:         32
        .size:           8
        .value_kind:     global_buffer
      - .address_space:  global
        .offset:         40
        .size:           8
        .value_kind:     global_buffer
      - .address_space:  global
        .offset:         48
        .size:           8
        .value_kind:     global_buffer
      - .address_space:  global
        .offset:         56
        .size:           8
        .value_kind:     global_buffer
      - .offset:         64
        .size:           4
        .value_kind:     by_value
      - .offset:         68
        .size:           4
        .value_kind:     by_value
      - .offset:         72
        .size:           4
        .value_kind:     by_value
      - .offset:         76
        .size:           4
        .value_kind:     by_value
      - .offset:         80
        .size:           4
        .value_kind:     by_value
      - .offset:         84
        .size:           4
        .value_kind:     by_value
      - .offset:         88
        .size:           4
        .value_kind:     by_value
      - .offset:         92
        .size:           12
        .value_kind:     by_value
      - .offset:         104
        .size:           4
        .value_kind:     by_value
      - .offset:         108
        .size:           4
        .value_kind:     by_value
      - .offset:         112
        .size:           4
        .value_kind:     by_value
      - .offset:         116
        .size:           4
        .value_kind:     by_value
      - .offset:         120
        .size:           4
        .value_kind:     by_value
      - .offset:         124
        .size:           4
        .value_kind:     by_value
      - .offset:         128
        .size:           4
        .value_kind:     by_value
      - .offset:         132
        .size:           4
        .value_kind:     by_value
      - .offset:         136
        .size:           4
        .value_kind:     by_value
      - .offset:         140
        .size:           4
        .value_kind:     by_value
      - .offset:         144
        .size:           4
        .value_kind:     by_value
      - .offset:         152
        .size:           8
        .value_kind:     by_value
      - .offset:         160
        .size:           4
        .value_kind:     by_value
      - .offset:         164
        .size:           4
        .value_kind:     by_value
      - .offset:         168
        .size:           8
        .value_kind:     by_value
      - .offset:         176
        .size:           4
        .value_kind:     by_value
      - .offset:         180
        .size:           4
        .value_kind:     by_value
      - .offset:         184
        .size:           4
        .value_kind:     by_value
      - .offset:         188
        .size:           4
        .value_kind:     by_value
      - .offset:         192
        .size:           4
        .value_kind:     by_value
      - .offset:         200
        .size:           8
        .value_kind:     by_value
      - .offset:         208
        .size:           4
        .value_kind:     hidden_block_count_x
      - .offset:         212
        .size:           4
        .value_kind:     hidden_block_count_y
      - .offset:         216
        .size:           4
        .value_kind:     hidden_block_count_z
      - .offset:         220
        .size:           2
        .value_kind:     hidden_group_size_x
      - .offset:         222
        .size:           2
        .value_kind:     hidden_group_size_y
      - .offset:         224
        .size:           2
        .value_kind:     hidden_group_size_z
      - .offset:         226
        .size:           2
        .value_kind:     hidden_remainder_x
      - .offset:         228
        .size:           2
        .value_kind:     hidden_remainder_y
      - .offset:         230
        .size:           2
        .value_kind:     hidden_remainder_z
      - .offset:         248
        .size:           8
        .value_kind:     hidden_global_offset_x
      - .offset:         256
        .size:           8
        .value_kind:     hidden_global_offset_y
      - .offset:         264
        .size:           8
        .value_kind:     hidden_global_offset_z
      - .offset:         272
        .size:           2
        .value_kind:     hidden_grid_dims
    .group_segment_fixed_size: 1280
    .kernarg_segment_align: 8
    .kernarg_segment_size: 464
    .language:       OpenCL C
    .language_version:
      - 2
      - 0
    .max_flat_workgroup_size: 128
    .name:           _ZL18flash_attn_ext_vecILi128ELi1EL9ggml_type7ELS0_8ELb0EEvPKcS2_S2_S2_S2_PKiPfP15HIP_vector_typeIfLj2EEffffjfiS6_IjLj3EEiiiiiiiiiiiliiliiiiil
    .private_segment_fixed_size: 0
    .sgpr_count:     53
    .sgpr_spill_count: 0
    .symbol:         _ZL18flash_attn_ext_vecILi128ELi1EL9ggml_type7ELS0_8ELb0EEvPKcS2_S2_S2_S2_PKiPfP15HIP_vector_typeIfLj2EEffffjfiS6_IjLj3EEiiiiiiiiiiiliiliiiiil.kd
    .uniform_work_group_size: 1
    .uses_dynamic_stack: false
    .vgpr_count:     226
    .vgpr_spill_count: 0
    .wavefront_size: 32
    .workgroup_processor_mode: 1
  - .args:
      - .address_space:  global
        .offset:         0
        .size:           8
        .value_kind:     global_buffer
      - .address_space:  global
        .offset:         8
        .size:           8
        .value_kind:     global_buffer
      - .offset:         16
        .size:           4
        .value_kind:     by_value
      - .offset:         20
        .size:           4
        .value_kind:     by_value
      - .offset:         24
        .size:           4
        .value_kind:     by_value
      - .offset:         28
        .size:           4
        .value_kind:     by_value
      - .offset:         32
        .size:           4
        .value_kind:     by_value
      - .offset:         36
        .size:           4
        .value_kind:     by_value
      - .offset:         40
        .size:           12
        .value_kind:     by_value
      - .offset:         52
        .size:           12
        .value_kind:     by_value
      - .offset:         64
        .size:           12
        .value_kind:     by_value
    .group_segment_fixed_size: 0
    .kernarg_segment_align: 8
    .kernarg_segment_size: 76
    .language:       OpenCL C
    .language_version:
      - 2
      - 0
    .max_flat_workgroup_size: 128
    .name:           _ZL33flash_attn_stream_k_fixup_uniformILi128ELi1ELi1EEvPfPK15HIP_vector_typeIfLj2EEiiiiiiS1_IjLj3EES5_S5_
    .private_segment_fixed_size: 0
    .sgpr_count:     22
    .sgpr_spill_count: 0
    .symbol:         _ZL33flash_attn_stream_k_fixup_uniformILi128ELi1ELi1EEvPfPK15HIP_vector_typeIfLj2EEiiiiiiS1_IjLj3EES5_S5_.kd
    .uniform_work_group_size: 1
    .uses_dynamic_stack: false
    .vgpr_count:     15
    .vgpr_spill_count: 0
    .wavefront_size: 32
    .workgroup_processor_mode: 1
  - .args:
      - .address_space:  global
        .offset:         0
        .size:           8
        .value_kind:     global_buffer
      - .address_space:  global
        .offset:         8
        .size:           8
        .value_kind:     global_buffer
      - .offset:         16
        .size:           4
        .value_kind:     by_value
      - .offset:         20
        .size:           4
        .value_kind:     by_value
      - .offset:         24
        .size:           4
        .value_kind:     by_value
      - .offset:         28
        .size:           4
        .value_kind:     by_value
      - .offset:         32
        .size:           12
        .value_kind:     by_value
      - .offset:         44
        .size:           12
        .value_kind:     by_value
      - .offset:         56
        .size:           12
        .value_kind:     by_value
      - .offset:         68
        .size:           12
        .value_kind:     by_value
      - .offset:         80
        .size:           4
        .value_kind:     hidden_block_count_x
      - .offset:         84
        .size:           4
        .value_kind:     hidden_block_count_y
      - .offset:         88
        .size:           4
        .value_kind:     hidden_block_count_z
      - .offset:         92
        .size:           2
        .value_kind:     hidden_group_size_x
      - .offset:         94
        .size:           2
        .value_kind:     hidden_group_size_y
      - .offset:         96
        .size:           2
        .value_kind:     hidden_group_size_z
      - .offset:         98
        .size:           2
        .value_kind:     hidden_remainder_x
      - .offset:         100
        .size:           2
        .value_kind:     hidden_remainder_y
      - .offset:         102
        .size:           2
        .value_kind:     hidden_remainder_z
      - .offset:         120
        .size:           8
        .value_kind:     hidden_global_offset_x
      - .offset:         128
        .size:           8
        .value_kind:     hidden_global_offset_y
      - .offset:         136
        .size:           8
        .value_kind:     hidden_global_offset_z
      - .offset:         144
        .size:           2
        .value_kind:     hidden_grid_dims
    .group_segment_fixed_size: 0
    .kernarg_segment_align: 8
    .kernarg_segment_size: 336
    .language:       OpenCL C
    .language_version:
      - 2
      - 0
    .max_flat_workgroup_size: 128
    .name:           _ZL33flash_attn_stream_k_fixup_generalILi128ELi1ELi1EEvPfPK15HIP_vector_typeIfLj2EEiiiiS1_IjLj3EES5_S5_S5_
    .private_segment_fixed_size: 0
    .sgpr_count:     33
    .sgpr_spill_count: 0
    .symbol:         _ZL33flash_attn_stream_k_fixup_generalILi128ELi1ELi1EEvPfPK15HIP_vector_typeIfLj2EEiiiiS1_IjLj3EES5_S5_S5_.kd
    .uniform_work_group_size: 1
    .uses_dynamic_stack: false
    .vgpr_count:     17
    .vgpr_spill_count: 0
    .wavefront_size: 32
    .workgroup_processor_mode: 1
  - .args:
      - .address_space:  global
        .offset:         0
        .size:           8
        .value_kind:     global_buffer
      - .address_space:  global
        .offset:         8
        .size:           8
        .value_kind:     global_buffer
      - .address_space:  global
        .offset:         16
        .size:           8
        .value_kind:     global_buffer
      - .offset:         24
        .size:           4
        .value_kind:     by_value
      - .offset:         32
        .size:           4
        .value_kind:     hidden_block_count_x
      - .offset:         36
        .size:           4
        .value_kind:     hidden_block_count_y
      - .offset:         40
        .size:           4
        .value_kind:     hidden_block_count_z
      - .offset:         44
        .size:           2
        .value_kind:     hidden_group_size_x
      - .offset:         46
        .size:           2
        .value_kind:     hidden_group_size_y
      - .offset:         48
        .size:           2
        .value_kind:     hidden_group_size_z
      - .offset:         50
        .size:           2
        .value_kind:     hidden_remainder_x
      - .offset:         52
        .size:           2
        .value_kind:     hidden_remainder_y
      - .offset:         54
        .size:           2
        .value_kind:     hidden_remainder_z
      - .offset:         72
        .size:           8
        .value_kind:     hidden_global_offset_x
      - .offset:         80
        .size:           8
        .value_kind:     hidden_global_offset_y
      - .offset:         88
        .size:           8
        .value_kind:     hidden_global_offset_z
      - .offset:         96
        .size:           2
        .value_kind:     hidden_grid_dims
      - .offset:         152
        .size:           4
        .value_kind:     hidden_dynamic_lds_size
    .group_segment_fixed_size: 0
    .kernarg_segment_align: 8
    .kernarg_segment_size: 288
    .language:       OpenCL C
    .language_version:
      - 2
      - 0
    .max_flat_workgroup_size: 128
    .name:           _ZL26flash_attn_combine_resultsILi128EEvPKfPK15HIP_vector_typeIfLj2EEPfi
    .private_segment_fixed_size: 0
    .sgpr_count:     20
    .sgpr_spill_count: 0
    .symbol:         _ZL26flash_attn_combine_resultsILi128EEvPKfPK15HIP_vector_typeIfLj2EEPfi.kd
    .uniform_work_group_size: 1
    .uses_dynamic_stack: false
    .vgpr_count:     52
    .vgpr_spill_count: 0
    .wavefront_size: 32
    .workgroup_processor_mode: 1
  - .args:
      - .address_space:  global
        .offset:         0
        .size:           8
        .value_kind:     global_buffer
      - .address_space:  global
        .offset:         8
        .size:           8
        .value_kind:     global_buffer
      - .address_space:  global
        .offset:         16
        .size:           8
        .value_kind:     global_buffer
      - .address_space:  global
        .offset:         24
        .size:           8
        .value_kind:     global_buffer
      - .address_space:  global
        .offset:         32
        .size:           8
        .value_kind:     global_buffer
      - .address_space:  global
        .offset:         40
        .size:           8
        .value_kind:     global_buffer
      - .address_space:  global
        .offset:         48
        .size:           8
        .value_kind:     global_buffer
      - .address_space:  global
        .offset:         56
        .size:           8
        .value_kind:     global_buffer
      - .offset:         64
        .size:           4
        .value_kind:     by_value
      - .offset:         68
        .size:           4
        .value_kind:     by_value
      - .offset:         72
        .size:           4
        .value_kind:     by_value
      - .offset:         76
        .size:           4
        .value_kind:     by_value
      - .offset:         80
        .size:           4
        .value_kind:     by_value
      - .offset:         84
        .size:           4
        .value_kind:     by_value
      - .offset:         88
        .size:           4
        .value_kind:     by_value
      - .offset:         92
        .size:           12
        .value_kind:     by_value
      - .offset:         104
        .size:           4
        .value_kind:     by_value
      - .offset:         108
        .size:           4
        .value_kind:     by_value
      - .offset:         112
        .size:           4
        .value_kind:     by_value
      - .offset:         116
        .size:           4
        .value_kind:     by_value
      - .offset:         120
        .size:           4
        .value_kind:     by_value
      - .offset:         124
        .size:           4
        .value_kind:     by_value
      - .offset:         128
        .size:           4
        .value_kind:     by_value
      - .offset:         132
        .size:           4
        .value_kind:     by_value
      - .offset:         136
        .size:           4
        .value_kind:     by_value
      - .offset:         140
        .size:           4
        .value_kind:     by_value
      - .offset:         144
        .size:           4
        .value_kind:     by_value
      - .offset:         152
        .size:           8
        .value_kind:     by_value
      - .offset:         160
        .size:           4
        .value_kind:     by_value
      - .offset:         164
        .size:           4
        .value_kind:     by_value
      - .offset:         168
        .size:           8
        .value_kind:     by_value
      - .offset:         176
        .size:           4
        .value_kind:     by_value
      - .offset:         180
        .size:           4
        .value_kind:     by_value
      - .offset:         184
        .size:           4
        .value_kind:     by_value
      - .offset:         188
        .size:           4
        .value_kind:     by_value
      - .offset:         192
        .size:           4
        .value_kind:     by_value
      - .offset:         200
        .size:           8
        .value_kind:     by_value
      - .offset:         208
        .size:           4
        .value_kind:     hidden_block_count_x
      - .offset:         212
        .size:           4
        .value_kind:     hidden_block_count_y
      - .offset:         216
        .size:           4
        .value_kind:     hidden_block_count_z
      - .offset:         220
        .size:           2
        .value_kind:     hidden_group_size_x
      - .offset:         222
        .size:           2
        .value_kind:     hidden_group_size_y
      - .offset:         224
        .size:           2
        .value_kind:     hidden_group_size_z
      - .offset:         226
        .size:           2
        .value_kind:     hidden_remainder_x
      - .offset:         228
        .size:           2
        .value_kind:     hidden_remainder_y
      - .offset:         230
        .size:           2
        .value_kind:     hidden_remainder_z
      - .offset:         248
        .size:           8
        .value_kind:     hidden_global_offset_x
      - .offset:         256
        .size:           8
        .value_kind:     hidden_global_offset_y
      - .offset:         264
        .size:           8
        .value_kind:     hidden_global_offset_z
      - .offset:         272
        .size:           2
        .value_kind:     hidden_grid_dims
    .group_segment_fixed_size: 1280
    .kernarg_segment_align: 8
    .kernarg_segment_size: 464
    .language:       OpenCL C
    .language_version:
      - 2
      - 0
    .max_flat_workgroup_size: 128
    .name:           _ZL18flash_attn_ext_vecILi128ELi1EL9ggml_type7ELS0_8ELb1EEvPKcS2_S2_S2_S2_PKiPfP15HIP_vector_typeIfLj2EEffffjfiS6_IjLj3EEiiiiiiiiiiiliiliiiiil
    .private_segment_fixed_size: 0
    .sgpr_count:     54
    .sgpr_spill_count: 0
    .symbol:         _ZL18flash_attn_ext_vecILi128ELi1EL9ggml_type7ELS0_8ELb1EEvPKcS2_S2_S2_S2_PKiPfP15HIP_vector_typeIfLj2EEffffjfiS6_IjLj3EEiiiiiiiiiiiliiliiiiil.kd
    .uniform_work_group_size: 1
    .uses_dynamic_stack: false
    .vgpr_count:     226
    .vgpr_spill_count: 0
    .wavefront_size: 32
    .workgroup_processor_mode: 1
  - .args:
      - .address_space:  global
        .offset:         0
        .size:           8
        .value_kind:     global_buffer
      - .address_space:  global
        .offset:         8
        .size:           8
        .value_kind:     global_buffer
      - .address_space:  global
        .offset:         16
        .size:           8
        .value_kind:     global_buffer
      - .address_space:  global
        .offset:         24
        .size:           8
        .value_kind:     global_buffer
      - .address_space:  global
        .offset:         32
        .size:           8
        .value_kind:     global_buffer
      - .address_space:  global
        .offset:         40
        .size:           8
        .value_kind:     global_buffer
      - .address_space:  global
        .offset:         48
        .size:           8
        .value_kind:     global_buffer
      - .address_space:  global
        .offset:         56
        .size:           8
        .value_kind:     global_buffer
      - .offset:         64
        .size:           4
        .value_kind:     by_value
      - .offset:         68
        .size:           4
        .value_kind:     by_value
      - .offset:         72
        .size:           4
        .value_kind:     by_value
      - .offset:         76
        .size:           4
        .value_kind:     by_value
      - .offset:         80
        .size:           4
        .value_kind:     by_value
      - .offset:         84
        .size:           4
        .value_kind:     by_value
      - .offset:         88
        .size:           4
        .value_kind:     by_value
      - .offset:         92
        .size:           12
        .value_kind:     by_value
      - .offset:         104
        .size:           4
        .value_kind:     by_value
      - .offset:         108
        .size:           4
        .value_kind:     by_value
      - .offset:         112
        .size:           4
        .value_kind:     by_value
      - .offset:         116
        .size:           4
        .value_kind:     by_value
      - .offset:         120
        .size:           4
        .value_kind:     by_value
      - .offset:         124
        .size:           4
        .value_kind:     by_value
      - .offset:         128
        .size:           4
        .value_kind:     by_value
      - .offset:         132
        .size:           4
        .value_kind:     by_value
      - .offset:         136
        .size:           4
        .value_kind:     by_value
      - .offset:         140
        .size:           4
        .value_kind:     by_value
      - .offset:         144
        .size:           4
        .value_kind:     by_value
      - .offset:         152
        .size:           8
        .value_kind:     by_value
      - .offset:         160
        .size:           4
        .value_kind:     by_value
      - .offset:         164
        .size:           4
        .value_kind:     by_value
      - .offset:         168
        .size:           8
        .value_kind:     by_value
      - .offset:         176
        .size:           4
        .value_kind:     by_value
      - .offset:         180
        .size:           4
        .value_kind:     by_value
      - .offset:         184
        .size:           4
        .value_kind:     by_value
      - .offset:         188
        .size:           4
        .value_kind:     by_value
      - .offset:         192
        .size:           4
        .value_kind:     by_value
      - .offset:         200
        .size:           8
        .value_kind:     by_value
      - .offset:         208
        .size:           4
        .value_kind:     hidden_block_count_x
      - .offset:         212
        .size:           4
        .value_kind:     hidden_block_count_y
      - .offset:         216
        .size:           4
        .value_kind:     hidden_block_count_z
      - .offset:         220
        .size:           2
        .value_kind:     hidden_group_size_x
      - .offset:         222
        .size:           2
        .value_kind:     hidden_group_size_y
      - .offset:         224
        .size:           2
        .value_kind:     hidden_group_size_z
      - .offset:         226
        .size:           2
        .value_kind:     hidden_remainder_x
      - .offset:         228
        .size:           2
        .value_kind:     hidden_remainder_y
      - .offset:         230
        .size:           2
        .value_kind:     hidden_remainder_z
      - .offset:         248
        .size:           8
        .value_kind:     hidden_global_offset_x
      - .offset:         256
        .size:           8
        .value_kind:     hidden_global_offset_y
      - .offset:         264
        .size:           8
        .value_kind:     hidden_global_offset_z
      - .offset:         272
        .size:           2
        .value_kind:     hidden_grid_dims
    .group_segment_fixed_size: 3584
    .kernarg_segment_align: 8
    .kernarg_segment_size: 464
    .language:       OpenCL C
    .language_version:
      - 2
      - 0
    .max_flat_workgroup_size: 128
    .name:           _ZL18flash_attn_ext_vecILi128ELi2EL9ggml_type7ELS0_8ELb0EEvPKcS2_S2_S2_S2_PKiPfP15HIP_vector_typeIfLj2EEffffjfiS6_IjLj3EEiiiiiiiiiiiliiliiiiil
    .private_segment_fixed_size: 0
    .sgpr_count:     52
    .sgpr_spill_count: 0
    .symbol:         _ZL18flash_attn_ext_vecILi128ELi2EL9ggml_type7ELS0_8ELb0EEvPKcS2_S2_S2_S2_PKiPfP15HIP_vector_typeIfLj2EEffffjfiS6_IjLj3EEiiiiiiiiiiiliiliiiiil.kd
    .uniform_work_group_size: 1
    .uses_dynamic_stack: false
    .vgpr_count:     250
    .vgpr_spill_count: 0
    .wavefront_size: 32
    .workgroup_processor_mode: 1
  - .args:
      - .address_space:  global
        .offset:         0
        .size:           8
        .value_kind:     global_buffer
      - .address_space:  global
        .offset:         8
        .size:           8
        .value_kind:     global_buffer
      - .offset:         16
        .size:           4
        .value_kind:     by_value
      - .offset:         20
        .size:           4
        .value_kind:     by_value
      - .offset:         24
        .size:           4
        .value_kind:     by_value
      - .offset:         28
        .size:           4
        .value_kind:     by_value
      - .offset:         32
        .size:           4
        .value_kind:     by_value
      - .offset:         36
        .size:           4
        .value_kind:     by_value
      - .offset:         40
        .size:           12
        .value_kind:     by_value
      - .offset:         52
        .size:           12
        .value_kind:     by_value
      - .offset:         64
        .size:           12
        .value_kind:     by_value
    .group_segment_fixed_size: 0
    .kernarg_segment_align: 8
    .kernarg_segment_size: 76
    .language:       OpenCL C
    .language_version:
      - 2
      - 0
    .max_flat_workgroup_size: 128
    .name:           _ZL33flash_attn_stream_k_fixup_uniformILi128ELi2ELi1EEvPfPK15HIP_vector_typeIfLj2EEiiiiiiS1_IjLj3EES5_S5_
    .private_segment_fixed_size: 0
    .sgpr_count:     26
    .sgpr_spill_count: 0
    .symbol:         _ZL33flash_attn_stream_k_fixup_uniformILi128ELi2ELi1EEvPfPK15HIP_vector_typeIfLj2EEiiiiiiS1_IjLj3EES5_S5_.kd
    .uniform_work_group_size: 1
    .uses_dynamic_stack: false
    .vgpr_count:     15
    .vgpr_spill_count: 0
    .wavefront_size: 32
    .workgroup_processor_mode: 1
  - .args:
      - .address_space:  global
        .offset:         0
        .size:           8
        .value_kind:     global_buffer
      - .address_space:  global
        .offset:         8
        .size:           8
        .value_kind:     global_buffer
      - .offset:         16
        .size:           4
        .value_kind:     by_value
      - .offset:         20
        .size:           4
        .value_kind:     by_value
      - .offset:         24
        .size:           4
        .value_kind:     by_value
      - .offset:         28
        .size:           4
        .value_kind:     by_value
      - .offset:         32
        .size:           12
        .value_kind:     by_value
      - .offset:         44
        .size:           12
        .value_kind:     by_value
      - .offset:         56
        .size:           12
        .value_kind:     by_value
      - .offset:         68
        .size:           12
        .value_kind:     by_value
      - .offset:         80
        .size:           4
        .value_kind:     hidden_block_count_x
      - .offset:         84
        .size:           4
        .value_kind:     hidden_block_count_y
      - .offset:         88
        .size:           4
        .value_kind:     hidden_block_count_z
      - .offset:         92
        .size:           2
        .value_kind:     hidden_group_size_x
      - .offset:         94
        .size:           2
        .value_kind:     hidden_group_size_y
      - .offset:         96
        .size:           2
        .value_kind:     hidden_group_size_z
      - .offset:         98
        .size:           2
        .value_kind:     hidden_remainder_x
      - .offset:         100
        .size:           2
        .value_kind:     hidden_remainder_y
      - .offset:         102
        .size:           2
        .value_kind:     hidden_remainder_z
      - .offset:         120
        .size:           8
        .value_kind:     hidden_global_offset_x
      - .offset:         128
        .size:           8
        .value_kind:     hidden_global_offset_y
      - .offset:         136
        .size:           8
        .value_kind:     hidden_global_offset_z
      - .offset:         144
        .size:           2
        .value_kind:     hidden_grid_dims
    .group_segment_fixed_size: 0
    .kernarg_segment_align: 8
    .kernarg_segment_size: 336
    .language:       OpenCL C
    .language_version:
      - 2
      - 0
    .max_flat_workgroup_size: 128
    .name:           _ZL33flash_attn_stream_k_fixup_generalILi128ELi2ELi1EEvPfPK15HIP_vector_typeIfLj2EEiiiiS1_IjLj3EES5_S5_S5_
    .private_segment_fixed_size: 0
    .sgpr_count:     33
    .sgpr_spill_count: 0
    .symbol:         _ZL33flash_attn_stream_k_fixup_generalILi128ELi2ELi1EEvPfPK15HIP_vector_typeIfLj2EEiiiiS1_IjLj3EES5_S5_S5_.kd
    .uniform_work_group_size: 1
    .uses_dynamic_stack: false
    .vgpr_count:     17
    .vgpr_spill_count: 0
    .wavefront_size: 32
    .workgroup_processor_mode: 1
  - .args:
      - .address_space:  global
        .offset:         0
        .size:           8
        .value_kind:     global_buffer
      - .address_space:  global
        .offset:         8
        .size:           8
        .value_kind:     global_buffer
      - .address_space:  global
        .offset:         16
        .size:           8
        .value_kind:     global_buffer
      - .address_space:  global
        .offset:         24
        .size:           8
        .value_kind:     global_buffer
      - .address_space:  global
        .offset:         32
        .size:           8
        .value_kind:     global_buffer
      - .address_space:  global
        .offset:         40
        .size:           8
        .value_kind:     global_buffer
      - .address_space:  global
        .offset:         48
        .size:           8
        .value_kind:     global_buffer
      - .address_space:  global
        .offset:         56
        .size:           8
        .value_kind:     global_buffer
      - .offset:         64
        .size:           4
        .value_kind:     by_value
      - .offset:         68
        .size:           4
        .value_kind:     by_value
      - .offset:         72
        .size:           4
        .value_kind:     by_value
      - .offset:         76
        .size:           4
        .value_kind:     by_value
      - .offset:         80
        .size:           4
        .value_kind:     by_value
      - .offset:         84
        .size:           4
        .value_kind:     by_value
      - .offset:         88
        .size:           4
        .value_kind:     by_value
      - .offset:         92
        .size:           12
        .value_kind:     by_value
      - .offset:         104
        .size:           4
        .value_kind:     by_value
      - .offset:         108
        .size:           4
        .value_kind:     by_value
      - .offset:         112
        .size:           4
        .value_kind:     by_value
      - .offset:         116
        .size:           4
        .value_kind:     by_value
      - .offset:         120
        .size:           4
        .value_kind:     by_value
      - .offset:         124
        .size:           4
        .value_kind:     by_value
      - .offset:         128
        .size:           4
        .value_kind:     by_value
      - .offset:         132
        .size:           4
        .value_kind:     by_value
      - .offset:         136
        .size:           4
        .value_kind:     by_value
      - .offset:         140
        .size:           4
        .value_kind:     by_value
      - .offset:         144
        .size:           4
        .value_kind:     by_value
      - .offset:         152
        .size:           8
        .value_kind:     by_value
      - .offset:         160
        .size:           4
        .value_kind:     by_value
      - .offset:         164
        .size:           4
        .value_kind:     by_value
      - .offset:         168
        .size:           8
        .value_kind:     by_value
      - .offset:         176
        .size:           4
        .value_kind:     by_value
      - .offset:         180
        .size:           4
        .value_kind:     by_value
      - .offset:         184
        .size:           4
        .value_kind:     by_value
      - .offset:         188
        .size:           4
        .value_kind:     by_value
      - .offset:         192
        .size:           4
        .value_kind:     by_value
      - .offset:         200
        .size:           8
        .value_kind:     by_value
      - .offset:         208
        .size:           4
        .value_kind:     hidden_block_count_x
      - .offset:         212
        .size:           4
        .value_kind:     hidden_block_count_y
      - .offset:         216
        .size:           4
        .value_kind:     hidden_block_count_z
      - .offset:         220
        .size:           2
        .value_kind:     hidden_group_size_x
      - .offset:         222
        .size:           2
        .value_kind:     hidden_group_size_y
      - .offset:         224
        .size:           2
        .value_kind:     hidden_group_size_z
      - .offset:         226
        .size:           2
        .value_kind:     hidden_remainder_x
      - .offset:         228
        .size:           2
        .value_kind:     hidden_remainder_y
      - .offset:         230
        .size:           2
        .value_kind:     hidden_remainder_z
      - .offset:         248
        .size:           8
        .value_kind:     hidden_global_offset_x
      - .offset:         256
        .size:           8
        .value_kind:     hidden_global_offset_y
      - .offset:         264
        .size:           8
        .value_kind:     hidden_global_offset_z
      - .offset:         272
        .size:           2
        .value_kind:     hidden_grid_dims
    .group_segment_fixed_size: 3584
    .kernarg_segment_align: 8
    .kernarg_segment_size: 464
    .language:       OpenCL C
    .language_version:
      - 2
      - 0
    .max_flat_workgroup_size: 128
    .name:           _ZL18flash_attn_ext_vecILi128ELi2EL9ggml_type7ELS0_8ELb1EEvPKcS2_S2_S2_S2_PKiPfP15HIP_vector_typeIfLj2EEffffjfiS6_IjLj3EEiiiiiiiiiiiliiliiiiil
    .private_segment_fixed_size: 0
    .sgpr_count:     54
    .sgpr_spill_count: 0
    .symbol:         _ZL18flash_attn_ext_vecILi128ELi2EL9ggml_type7ELS0_8ELb1EEvPKcS2_S2_S2_S2_PKiPfP15HIP_vector_typeIfLj2EEffffjfiS6_IjLj3EEiiiiiiiiiiiliiliiiiil.kd
    .uniform_work_group_size: 1
    .uses_dynamic_stack: false
    .vgpr_count:     250
    .vgpr_spill_count: 0
    .wavefront_size: 32
    .workgroup_processor_mode: 1
  - .args:
      - .address_space:  global
        .offset:         0
        .size:           8
        .value_kind:     global_buffer
      - .address_space:  global
        .offset:         8
        .size:           8
        .value_kind:     global_buffer
      - .address_space:  global
        .offset:         16
        .size:           8
        .value_kind:     global_buffer
      - .address_space:  global
        .offset:         24
        .size:           8
        .value_kind:     global_buffer
      - .address_space:  global
        .offset:         32
        .size:           8
        .value_kind:     global_buffer
      - .address_space:  global
        .offset:         40
        .size:           8
        .value_kind:     global_buffer
      - .address_space:  global
        .offset:         48
        .size:           8
        .value_kind:     global_buffer
      - .address_space:  global
        .offset:         56
        .size:           8
        .value_kind:     global_buffer
      - .offset:         64
        .size:           4
        .value_kind:     by_value
      - .offset:         68
        .size:           4
        .value_kind:     by_value
      - .offset:         72
        .size:           4
        .value_kind:     by_value
      - .offset:         76
        .size:           4
        .value_kind:     by_value
      - .offset:         80
        .size:           4
        .value_kind:     by_value
      - .offset:         84
        .size:           4
        .value_kind:     by_value
      - .offset:         88
        .size:           4
        .value_kind:     by_value
      - .offset:         92
        .size:           12
        .value_kind:     by_value
      - .offset:         104
        .size:           4
        .value_kind:     by_value
      - .offset:         108
        .size:           4
        .value_kind:     by_value
      - .offset:         112
        .size:           4
        .value_kind:     by_value
      - .offset:         116
        .size:           4
        .value_kind:     by_value
      - .offset:         120
        .size:           4
        .value_kind:     by_value
      - .offset:         124
        .size:           4
        .value_kind:     by_value
      - .offset:         128
        .size:           4
        .value_kind:     by_value
      - .offset:         132
        .size:           4
        .value_kind:     by_value
      - .offset:         136
        .size:           4
        .value_kind:     by_value
      - .offset:         140
        .size:           4
        .value_kind:     by_value
      - .offset:         144
        .size:           4
        .value_kind:     by_value
      - .offset:         152
        .size:           8
        .value_kind:     by_value
      - .offset:         160
        .size:           4
        .value_kind:     by_value
      - .offset:         164
        .size:           4
        .value_kind:     by_value
      - .offset:         168
        .size:           8
        .value_kind:     by_value
      - .offset:         176
        .size:           4
        .value_kind:     by_value
      - .offset:         180
        .size:           4
        .value_kind:     by_value
      - .offset:         184
        .size:           4
        .value_kind:     by_value
      - .offset:         188
        .size:           4
        .value_kind:     by_value
      - .offset:         192
        .size:           4
        .value_kind:     by_value
      - .offset:         200
        .size:           8
        .value_kind:     by_value
      - .offset:         208
        .size:           4
        .value_kind:     hidden_block_count_x
      - .offset:         212
        .size:           4
        .value_kind:     hidden_block_count_y
      - .offset:         216
        .size:           4
        .value_kind:     hidden_block_count_z
      - .offset:         220
        .size:           2
        .value_kind:     hidden_group_size_x
      - .offset:         222
        .size:           2
        .value_kind:     hidden_group_size_y
      - .offset:         224
        .size:           2
        .value_kind:     hidden_group_size_z
      - .offset:         226
        .size:           2
        .value_kind:     hidden_remainder_x
      - .offset:         228
        .size:           2
        .value_kind:     hidden_remainder_y
      - .offset:         230
        .size:           2
        .value_kind:     hidden_remainder_z
      - .offset:         248
        .size:           8
        .value_kind:     hidden_global_offset_x
      - .offset:         256
        .size:           8
        .value_kind:     hidden_global_offset_y
      - .offset:         264
        .size:           8
        .value_kind:     hidden_global_offset_z
      - .offset:         272
        .size:           2
        .value_kind:     hidden_grid_dims
    .group_segment_fixed_size: 2304
    .kernarg_segment_align: 8
    .kernarg_segment_size: 464
    .language:       OpenCL C
    .language_version:
      - 2
      - 0
    .max_flat_workgroup_size: 128
    .name:           _ZL18flash_attn_ext_vecILi256ELi1EL9ggml_type7ELS0_8ELb0EEvPKcS2_S2_S2_S2_PKiPfP15HIP_vector_typeIfLj2EEffffjfiS6_IjLj3EEiiiiiiiiiiiliiliiiiil
    .private_segment_fixed_size: 0
    .sgpr_count:     54
    .sgpr_spill_count: 0
    .symbol:         _ZL18flash_attn_ext_vecILi256ELi1EL9ggml_type7ELS0_8ELb0EEvPKcS2_S2_S2_S2_PKiPfP15HIP_vector_typeIfLj2EEffffjfiS6_IjLj3EEiiiiiiiiiiiliiliiiiil.kd
    .uniform_work_group_size: 1
    .uses_dynamic_stack: false
    .vgpr_count:     160
    .vgpr_spill_count: 0
    .wavefront_size: 32
    .workgroup_processor_mode: 1
  - .args:
      - .address_space:  global
        .offset:         0
        .size:           8
        .value_kind:     global_buffer
      - .address_space:  global
        .offset:         8
        .size:           8
        .value_kind:     global_buffer
      - .offset:         16
        .size:           4
        .value_kind:     by_value
      - .offset:         20
        .size:           4
        .value_kind:     by_value
      - .offset:         24
        .size:           4
        .value_kind:     by_value
      - .offset:         28
        .size:           4
        .value_kind:     by_value
      - .offset:         32
        .size:           4
        .value_kind:     by_value
      - .offset:         36
        .size:           4
        .value_kind:     by_value
      - .offset:         40
        .size:           12
        .value_kind:     by_value
      - .offset:         52
        .size:           12
        .value_kind:     by_value
      - .offset:         64
        .size:           12
        .value_kind:     by_value
    .group_segment_fixed_size: 0
    .kernarg_segment_align: 8
    .kernarg_segment_size: 76
    .language:       OpenCL C
    .language_version:
      - 2
      - 0
    .max_flat_workgroup_size: 256
    .name:           _ZL33flash_attn_stream_k_fixup_uniformILi256ELi1ELi1EEvPfPK15HIP_vector_typeIfLj2EEiiiiiiS1_IjLj3EES5_S5_
    .private_segment_fixed_size: 0
    .sgpr_count:     22
    .sgpr_spill_count: 0
    .symbol:         _ZL33flash_attn_stream_k_fixup_uniformILi256ELi1ELi1EEvPfPK15HIP_vector_typeIfLj2EEiiiiiiS1_IjLj3EES5_S5_.kd
    .uniform_work_group_size: 1
    .uses_dynamic_stack: false
    .vgpr_count:     15
    .vgpr_spill_count: 0
    .wavefront_size: 32
    .workgroup_processor_mode: 1
  - .args:
      - .address_space:  global
        .offset:         0
        .size:           8
        .value_kind:     global_buffer
      - .address_space:  global
        .offset:         8
        .size:           8
        .value_kind:     global_buffer
      - .offset:         16
        .size:           4
        .value_kind:     by_value
      - .offset:         20
        .size:           4
        .value_kind:     by_value
      - .offset:         24
        .size:           4
        .value_kind:     by_value
      - .offset:         28
        .size:           4
        .value_kind:     by_value
      - .offset:         32
        .size:           12
        .value_kind:     by_value
      - .offset:         44
        .size:           12
        .value_kind:     by_value
      - .offset:         56
        .size:           12
        .value_kind:     by_value
      - .offset:         68
        .size:           12
        .value_kind:     by_value
      - .offset:         80
        .size:           4
        .value_kind:     hidden_block_count_x
      - .offset:         84
        .size:           4
        .value_kind:     hidden_block_count_y
      - .offset:         88
        .size:           4
        .value_kind:     hidden_block_count_z
      - .offset:         92
        .size:           2
        .value_kind:     hidden_group_size_x
      - .offset:         94
        .size:           2
        .value_kind:     hidden_group_size_y
      - .offset:         96
        .size:           2
        .value_kind:     hidden_group_size_z
      - .offset:         98
        .size:           2
        .value_kind:     hidden_remainder_x
      - .offset:         100
        .size:           2
        .value_kind:     hidden_remainder_y
      - .offset:         102
        .size:           2
        .value_kind:     hidden_remainder_z
      - .offset:         120
        .size:           8
        .value_kind:     hidden_global_offset_x
      - .offset:         128
        .size:           8
        .value_kind:     hidden_global_offset_y
      - .offset:         136
        .size:           8
        .value_kind:     hidden_global_offset_z
      - .offset:         144
        .size:           2
        .value_kind:     hidden_grid_dims
    .group_segment_fixed_size: 0
    .kernarg_segment_align: 8
    .kernarg_segment_size: 336
    .language:       OpenCL C
    .language_version:
      - 2
      - 0
    .max_flat_workgroup_size: 256
    .name:           _ZL33flash_attn_stream_k_fixup_generalILi256ELi1ELi1EEvPfPK15HIP_vector_typeIfLj2EEiiiiS1_IjLj3EES5_S5_S5_
    .private_segment_fixed_size: 0
    .sgpr_count:     33
    .sgpr_spill_count: 0
    .symbol:         _ZL33flash_attn_stream_k_fixup_generalILi256ELi1ELi1EEvPfPK15HIP_vector_typeIfLj2EEiiiiS1_IjLj3EES5_S5_S5_.kd
    .uniform_work_group_size: 1
    .uses_dynamic_stack: false
    .vgpr_count:     17
    .vgpr_spill_count: 0
    .wavefront_size: 32
    .workgroup_processor_mode: 1
  - .args:
      - .address_space:  global
        .offset:         0
        .size:           8
        .value_kind:     global_buffer
      - .address_space:  global
        .offset:         8
        .size:           8
        .value_kind:     global_buffer
      - .address_space:  global
        .offset:         16
        .size:           8
        .value_kind:     global_buffer
      - .offset:         24
        .size:           4
        .value_kind:     by_value
      - .offset:         32
        .size:           4
        .value_kind:     hidden_block_count_x
      - .offset:         36
        .size:           4
        .value_kind:     hidden_block_count_y
      - .offset:         40
        .size:           4
        .value_kind:     hidden_block_count_z
      - .offset:         44
        .size:           2
        .value_kind:     hidden_group_size_x
      - .offset:         46
        .size:           2
        .value_kind:     hidden_group_size_y
      - .offset:         48
        .size:           2
        .value_kind:     hidden_group_size_z
      - .offset:         50
        .size:           2
        .value_kind:     hidden_remainder_x
      - .offset:         52
        .size:           2
        .value_kind:     hidden_remainder_y
      - .offset:         54
        .size:           2
        .value_kind:     hidden_remainder_z
      - .offset:         72
        .size:           8
        .value_kind:     hidden_global_offset_x
      - .offset:         80
        .size:           8
        .value_kind:     hidden_global_offset_y
      - .offset:         88
        .size:           8
        .value_kind:     hidden_global_offset_z
      - .offset:         96
        .size:           2
        .value_kind:     hidden_grid_dims
      - .offset:         152
        .size:           4
        .value_kind:     hidden_dynamic_lds_size
    .group_segment_fixed_size: 0
    .kernarg_segment_align: 8
    .kernarg_segment_size: 288
    .language:       OpenCL C
    .language_version:
      - 2
      - 0
    .max_flat_workgroup_size: 256
    .name:           _ZL26flash_attn_combine_resultsILi256EEvPKfPK15HIP_vector_typeIfLj2EEPfi
    .private_segment_fixed_size: 0
    .sgpr_count:     20
    .sgpr_spill_count: 0
    .symbol:         _ZL26flash_attn_combine_resultsILi256EEvPKfPK15HIP_vector_typeIfLj2EEPfi.kd
    .uniform_work_group_size: 1
    .uses_dynamic_stack: false
    .vgpr_count:     52
    .vgpr_spill_count: 0
    .wavefront_size: 32
    .workgroup_processor_mode: 1
  - .args:
      - .address_space:  global
        .offset:         0
        .size:           8
        .value_kind:     global_buffer
      - .address_space:  global
        .offset:         8
        .size:           8
        .value_kind:     global_buffer
      - .address_space:  global
        .offset:         16
        .size:           8
        .value_kind:     global_buffer
      - .address_space:  global
        .offset:         24
        .size:           8
        .value_kind:     global_buffer
      - .address_space:  global
        .offset:         32
        .size:           8
        .value_kind:     global_buffer
      - .address_space:  global
        .offset:         40
        .size:           8
        .value_kind:     global_buffer
      - .address_space:  global
        .offset:         48
        .size:           8
        .value_kind:     global_buffer
      - .address_space:  global
        .offset:         56
        .size:           8
        .value_kind:     global_buffer
      - .offset:         64
        .size:           4
        .value_kind:     by_value
      - .offset:         68
        .size:           4
        .value_kind:     by_value
      - .offset:         72
        .size:           4
        .value_kind:     by_value
      - .offset:         76
        .size:           4
        .value_kind:     by_value
      - .offset:         80
        .size:           4
        .value_kind:     by_value
      - .offset:         84
        .size:           4
        .value_kind:     by_value
      - .offset:         88
        .size:           4
        .value_kind:     by_value
      - .offset:         92
        .size:           12
        .value_kind:     by_value
      - .offset:         104
        .size:           4
        .value_kind:     by_value
      - .offset:         108
        .size:           4
        .value_kind:     by_value
      - .offset:         112
        .size:           4
        .value_kind:     by_value
      - .offset:         116
        .size:           4
        .value_kind:     by_value
      - .offset:         120
        .size:           4
        .value_kind:     by_value
      - .offset:         124
        .size:           4
        .value_kind:     by_value
      - .offset:         128
        .size:           4
        .value_kind:     by_value
      - .offset:         132
        .size:           4
        .value_kind:     by_value
      - .offset:         136
        .size:           4
        .value_kind:     by_value
      - .offset:         140
        .size:           4
        .value_kind:     by_value
      - .offset:         144
        .size:           4
        .value_kind:     by_value
      - .offset:         152
        .size:           8
        .value_kind:     by_value
      - .offset:         160
        .size:           4
        .value_kind:     by_value
      - .offset:         164
        .size:           4
        .value_kind:     by_value
      - .offset:         168
        .size:           8
        .value_kind:     by_value
      - .offset:         176
        .size:           4
        .value_kind:     by_value
      - .offset:         180
        .size:           4
        .value_kind:     by_value
      - .offset:         184
        .size:           4
        .value_kind:     by_value
      - .offset:         188
        .size:           4
        .value_kind:     by_value
      - .offset:         192
        .size:           4
        .value_kind:     by_value
      - .offset:         200
        .size:           8
        .value_kind:     by_value
      - .offset:         208
        .size:           4
        .value_kind:     hidden_block_count_x
      - .offset:         212
        .size:           4
        .value_kind:     hidden_block_count_y
      - .offset:         216
        .size:           4
        .value_kind:     hidden_block_count_z
      - .offset:         220
        .size:           2
        .value_kind:     hidden_group_size_x
      - .offset:         222
        .size:           2
        .value_kind:     hidden_group_size_y
      - .offset:         224
        .size:           2
        .value_kind:     hidden_group_size_z
      - .offset:         226
        .size:           2
        .value_kind:     hidden_remainder_x
      - .offset:         228
        .size:           2
        .value_kind:     hidden_remainder_y
      - .offset:         230
        .size:           2
        .value_kind:     hidden_remainder_z
      - .offset:         248
        .size:           8
        .value_kind:     hidden_global_offset_x
      - .offset:         256
        .size:           8
        .value_kind:     hidden_global_offset_y
      - .offset:         264
        .size:           8
        .value_kind:     hidden_global_offset_z
      - .offset:         272
        .size:           2
        .value_kind:     hidden_grid_dims
    .group_segment_fixed_size: 2304
    .kernarg_segment_align: 8
    .kernarg_segment_size: 464
    .language:       OpenCL C
    .language_version:
      - 2
      - 0
    .max_flat_workgroup_size: 128
    .name:           _ZL18flash_attn_ext_vecILi256ELi1EL9ggml_type7ELS0_8ELb1EEvPKcS2_S2_S2_S2_PKiPfP15HIP_vector_typeIfLj2EEffffjfiS6_IjLj3EEiiiiiiiiiiiliiliiiiil
    .private_segment_fixed_size: 0
    .sgpr_count:     55
    .sgpr_spill_count: 0
    .symbol:         _ZL18flash_attn_ext_vecILi256ELi1EL9ggml_type7ELS0_8ELb1EEvPKcS2_S2_S2_S2_PKiPfP15HIP_vector_typeIfLj2EEffffjfiS6_IjLj3EEiiiiiiiiiiiliiliiiiil.kd
    .uniform_work_group_size: 1
    .uses_dynamic_stack: false
    .vgpr_count:     160
    .vgpr_spill_count: 0
    .wavefront_size: 32
    .workgroup_processor_mode: 1
  - .args:
      - .address_space:  global
        .offset:         0
        .size:           8
        .value_kind:     global_buffer
      - .address_space:  global
        .offset:         8
        .size:           8
        .value_kind:     global_buffer
      - .address_space:  global
        .offset:         16
        .size:           8
        .value_kind:     global_buffer
      - .address_space:  global
        .offset:         24
        .size:           8
        .value_kind:     global_buffer
      - .address_space:  global
        .offset:         32
        .size:           8
        .value_kind:     global_buffer
      - .address_space:  global
        .offset:         40
        .size:           8
        .value_kind:     global_buffer
      - .address_space:  global
        .offset:         48
        .size:           8
        .value_kind:     global_buffer
      - .address_space:  global
        .offset:         56
        .size:           8
        .value_kind:     global_buffer
      - .offset:         64
        .size:           4
        .value_kind:     by_value
      - .offset:         68
        .size:           4
        .value_kind:     by_value
      - .offset:         72
        .size:           4
        .value_kind:     by_value
      - .offset:         76
        .size:           4
        .value_kind:     by_value
      - .offset:         80
        .size:           4
        .value_kind:     by_value
      - .offset:         84
        .size:           4
        .value_kind:     by_value
      - .offset:         88
        .size:           4
        .value_kind:     by_value
      - .offset:         92
        .size:           12
        .value_kind:     by_value
      - .offset:         104
        .size:           4
        .value_kind:     by_value
      - .offset:         108
        .size:           4
        .value_kind:     by_value
      - .offset:         112
        .size:           4
        .value_kind:     by_value
      - .offset:         116
        .size:           4
        .value_kind:     by_value
      - .offset:         120
        .size:           4
        .value_kind:     by_value
      - .offset:         124
        .size:           4
        .value_kind:     by_value
      - .offset:         128
        .size:           4
        .value_kind:     by_value
      - .offset:         132
        .size:           4
        .value_kind:     by_value
      - .offset:         136
        .size:           4
        .value_kind:     by_value
      - .offset:         140
        .size:           4
        .value_kind:     by_value
      - .offset:         144
        .size:           4
        .value_kind:     by_value
      - .offset:         152
        .size:           8
        .value_kind:     by_value
      - .offset:         160
        .size:           4
        .value_kind:     by_value
      - .offset:         164
        .size:           4
        .value_kind:     by_value
      - .offset:         168
        .size:           8
        .value_kind:     by_value
      - .offset:         176
        .size:           4
        .value_kind:     by_value
      - .offset:         180
        .size:           4
        .value_kind:     by_value
      - .offset:         184
        .size:           4
        .value_kind:     by_value
      - .offset:         188
        .size:           4
        .value_kind:     by_value
      - .offset:         192
        .size:           4
        .value_kind:     by_value
      - .offset:         200
        .size:           8
        .value_kind:     by_value
      - .offset:         208
        .size:           4
        .value_kind:     hidden_block_count_x
      - .offset:         212
        .size:           4
        .value_kind:     hidden_block_count_y
      - .offset:         216
        .size:           4
        .value_kind:     hidden_block_count_z
      - .offset:         220
        .size:           2
        .value_kind:     hidden_group_size_x
      - .offset:         222
        .size:           2
        .value_kind:     hidden_group_size_y
      - .offset:         224
        .size:           2
        .value_kind:     hidden_group_size_z
      - .offset:         226
        .size:           2
        .value_kind:     hidden_remainder_x
      - .offset:         228
        .size:           2
        .value_kind:     hidden_remainder_y
      - .offset:         230
        .size:           2
        .value_kind:     hidden_remainder_z
      - .offset:         248
        .size:           8
        .value_kind:     hidden_global_offset_x
      - .offset:         256
        .size:           8
        .value_kind:     hidden_global_offset_y
      - .offset:         264
        .size:           8
        .value_kind:     hidden_global_offset_z
      - .offset:         272
        .size:           2
        .value_kind:     hidden_grid_dims
    .group_segment_fixed_size: 6656
    .kernarg_segment_align: 8
    .kernarg_segment_size: 464
    .language:       OpenCL C
    .language_version:
      - 2
      - 0
    .max_flat_workgroup_size: 128
    .name:           _ZL18flash_attn_ext_vecILi256ELi2EL9ggml_type7ELS0_8ELb0EEvPKcS2_S2_S2_S2_PKiPfP15HIP_vector_typeIfLj2EEffffjfiS6_IjLj3EEiiiiiiiiiiiliiliiiiil
    .private_segment_fixed_size: 44
    .sgpr_count:     58
    .sgpr_spill_count: 0
    .symbol:         _ZL18flash_attn_ext_vecILi256ELi2EL9ggml_type7ELS0_8ELb0EEvPKcS2_S2_S2_S2_PKiPfP15HIP_vector_typeIfLj2EEffffjfiS6_IjLj3EEiiiiiiiiiiiliiliiiiil.kd
    .uniform_work_group_size: 1
    .uses_dynamic_stack: false
    .vgpr_count:     256
    .vgpr_spill_count: 10
    .wavefront_size: 32
    .workgroup_processor_mode: 1
  - .args:
      - .address_space:  global
        .offset:         0
        .size:           8
        .value_kind:     global_buffer
      - .address_space:  global
        .offset:         8
        .size:           8
        .value_kind:     global_buffer
      - .offset:         16
        .size:           4
        .value_kind:     by_value
      - .offset:         20
        .size:           4
        .value_kind:     by_value
      - .offset:         24
        .size:           4
        .value_kind:     by_value
      - .offset:         28
        .size:           4
        .value_kind:     by_value
      - .offset:         32
        .size:           4
        .value_kind:     by_value
      - .offset:         36
        .size:           4
        .value_kind:     by_value
      - .offset:         40
        .size:           12
        .value_kind:     by_value
      - .offset:         52
        .size:           12
        .value_kind:     by_value
      - .offset:         64
        .size:           12
        .value_kind:     by_value
    .group_segment_fixed_size: 0
    .kernarg_segment_align: 8
    .kernarg_segment_size: 76
    .language:       OpenCL C
    .language_version:
      - 2
      - 0
    .max_flat_workgroup_size: 256
    .name:           _ZL33flash_attn_stream_k_fixup_uniformILi256ELi2ELi1EEvPfPK15HIP_vector_typeIfLj2EEiiiiiiS1_IjLj3EES5_S5_
    .private_segment_fixed_size: 0
    .sgpr_count:     26
    .sgpr_spill_count: 0
    .symbol:         _ZL33flash_attn_stream_k_fixup_uniformILi256ELi2ELi1EEvPfPK15HIP_vector_typeIfLj2EEiiiiiiS1_IjLj3EES5_S5_.kd
    .uniform_work_group_size: 1
    .uses_dynamic_stack: false
    .vgpr_count:     15
    .vgpr_spill_count: 0
    .wavefront_size: 32
    .workgroup_processor_mode: 1
  - .args:
      - .address_space:  global
        .offset:         0
        .size:           8
        .value_kind:     global_buffer
      - .address_space:  global
        .offset:         8
        .size:           8
        .value_kind:     global_buffer
      - .offset:         16
        .size:           4
        .value_kind:     by_value
      - .offset:         20
        .size:           4
        .value_kind:     by_value
      - .offset:         24
        .size:           4
        .value_kind:     by_value
      - .offset:         28
        .size:           4
        .value_kind:     by_value
      - .offset:         32
        .size:           12
        .value_kind:     by_value
      - .offset:         44
        .size:           12
        .value_kind:     by_value
      - .offset:         56
        .size:           12
        .value_kind:     by_value
      - .offset:         68
        .size:           12
        .value_kind:     by_value
      - .offset:         80
        .size:           4
        .value_kind:     hidden_block_count_x
      - .offset:         84
        .size:           4
        .value_kind:     hidden_block_count_y
      - .offset:         88
        .size:           4
        .value_kind:     hidden_block_count_z
      - .offset:         92
        .size:           2
        .value_kind:     hidden_group_size_x
      - .offset:         94
        .size:           2
        .value_kind:     hidden_group_size_y
      - .offset:         96
        .size:           2
        .value_kind:     hidden_group_size_z
      - .offset:         98
        .size:           2
        .value_kind:     hidden_remainder_x
      - .offset:         100
        .size:           2
        .value_kind:     hidden_remainder_y
      - .offset:         102
        .size:           2
        .value_kind:     hidden_remainder_z
      - .offset:         120
        .size:           8
        .value_kind:     hidden_global_offset_x
      - .offset:         128
        .size:           8
        .value_kind:     hidden_global_offset_y
      - .offset:         136
        .size:           8
        .value_kind:     hidden_global_offset_z
      - .offset:         144
        .size:           2
        .value_kind:     hidden_grid_dims
    .group_segment_fixed_size: 0
    .kernarg_segment_align: 8
    .kernarg_segment_size: 336
    .language:       OpenCL C
    .language_version:
      - 2
      - 0
    .max_flat_workgroup_size: 256
    .name:           _ZL33flash_attn_stream_k_fixup_generalILi256ELi2ELi1EEvPfPK15HIP_vector_typeIfLj2EEiiiiS1_IjLj3EES5_S5_S5_
    .private_segment_fixed_size: 0
    .sgpr_count:     33
    .sgpr_spill_count: 0
    .symbol:         _ZL33flash_attn_stream_k_fixup_generalILi256ELi2ELi1EEvPfPK15HIP_vector_typeIfLj2EEiiiiS1_IjLj3EES5_S5_S5_.kd
    .uniform_work_group_size: 1
    .uses_dynamic_stack: false
    .vgpr_count:     17
    .vgpr_spill_count: 0
    .wavefront_size: 32
    .workgroup_processor_mode: 1
  - .args:
      - .address_space:  global
        .offset:         0
        .size:           8
        .value_kind:     global_buffer
      - .address_space:  global
        .offset:         8
        .size:           8
        .value_kind:     global_buffer
      - .address_space:  global
        .offset:         16
        .size:           8
        .value_kind:     global_buffer
      - .address_space:  global
        .offset:         24
        .size:           8
        .value_kind:     global_buffer
      - .address_space:  global
        .offset:         32
        .size:           8
        .value_kind:     global_buffer
      - .address_space:  global
        .offset:         40
        .size:           8
        .value_kind:     global_buffer
      - .address_space:  global
        .offset:         48
        .size:           8
        .value_kind:     global_buffer
      - .address_space:  global
        .offset:         56
        .size:           8
        .value_kind:     global_buffer
      - .offset:         64
        .size:           4
        .value_kind:     by_value
      - .offset:         68
        .size:           4
        .value_kind:     by_value
      - .offset:         72
        .size:           4
        .value_kind:     by_value
      - .offset:         76
        .size:           4
        .value_kind:     by_value
      - .offset:         80
        .size:           4
        .value_kind:     by_value
      - .offset:         84
        .size:           4
        .value_kind:     by_value
      - .offset:         88
        .size:           4
        .value_kind:     by_value
      - .offset:         92
        .size:           12
        .value_kind:     by_value
      - .offset:         104
        .size:           4
        .value_kind:     by_value
      - .offset:         108
        .size:           4
        .value_kind:     by_value
      - .offset:         112
        .size:           4
        .value_kind:     by_value
      - .offset:         116
        .size:           4
        .value_kind:     by_value
      - .offset:         120
        .size:           4
        .value_kind:     by_value
      - .offset:         124
        .size:           4
        .value_kind:     by_value
      - .offset:         128
        .size:           4
        .value_kind:     by_value
      - .offset:         132
        .size:           4
        .value_kind:     by_value
      - .offset:         136
        .size:           4
        .value_kind:     by_value
      - .offset:         140
        .size:           4
        .value_kind:     by_value
      - .offset:         144
        .size:           4
        .value_kind:     by_value
      - .offset:         152
        .size:           8
        .value_kind:     by_value
      - .offset:         160
        .size:           4
        .value_kind:     by_value
      - .offset:         164
        .size:           4
        .value_kind:     by_value
      - .offset:         168
        .size:           8
        .value_kind:     by_value
      - .offset:         176
        .size:           4
        .value_kind:     by_value
      - .offset:         180
        .size:           4
        .value_kind:     by_value
      - .offset:         184
        .size:           4
        .value_kind:     by_value
      - .offset:         188
        .size:           4
        .value_kind:     by_value
      - .offset:         192
        .size:           4
        .value_kind:     by_value
      - .offset:         200
        .size:           8
        .value_kind:     by_value
      - .offset:         208
        .size:           4
        .value_kind:     hidden_block_count_x
      - .offset:         212
        .size:           4
        .value_kind:     hidden_block_count_y
      - .offset:         216
        .size:           4
        .value_kind:     hidden_block_count_z
      - .offset:         220
        .size:           2
        .value_kind:     hidden_group_size_x
      - .offset:         222
        .size:           2
        .value_kind:     hidden_group_size_y
      - .offset:         224
        .size:           2
        .value_kind:     hidden_group_size_z
      - .offset:         226
        .size:           2
        .value_kind:     hidden_remainder_x
      - .offset:         228
        .size:           2
        .value_kind:     hidden_remainder_y
      - .offset:         230
        .size:           2
        .value_kind:     hidden_remainder_z
      - .offset:         248
        .size:           8
        .value_kind:     hidden_global_offset_x
      - .offset:         256
        .size:           8
        .value_kind:     hidden_global_offset_y
      - .offset:         264
        .size:           8
        .value_kind:     hidden_global_offset_z
      - .offset:         272
        .size:           2
        .value_kind:     hidden_grid_dims
    .group_segment_fixed_size: 6656
    .kernarg_segment_align: 8
    .kernarg_segment_size: 464
    .language:       OpenCL C
    .language_version:
      - 2
      - 0
    .max_flat_workgroup_size: 128
    .name:           _ZL18flash_attn_ext_vecILi256ELi2EL9ggml_type7ELS0_8ELb1EEvPKcS2_S2_S2_S2_PKiPfP15HIP_vector_typeIfLj2EEffffjfiS6_IjLj3EEiiiiiiiiiiiliiliiiiil
    .private_segment_fixed_size: 44
    .sgpr_count:     62
    .sgpr_spill_count: 0
    .symbol:         _ZL18flash_attn_ext_vecILi256ELi2EL9ggml_type7ELS0_8ELb1EEvPKcS2_S2_S2_S2_PKiPfP15HIP_vector_typeIfLj2EEffffjfiS6_IjLj3EEiiiiiiiiiiiliiliiiiil.kd
    .uniform_work_group_size: 1
    .uses_dynamic_stack: false
    .vgpr_count:     256
    .vgpr_spill_count: 10
    .wavefront_size: 32
    .workgroup_processor_mode: 1
amdhsa.target:   amdgcn-amd-amdhsa--gfx1030
amdhsa.version:
  - 1
  - 2
...

	.end_amdgpu_metadata
